;; amdgpu-corpus repo=ROCm/aiter kind=harvested arch=n/a opt=n/a

/root/src/amdgpu-assembly/repos/ROCm__aiter/hsa/gfx950/fmoe/gelu/fmoe_fp16_pertokenInt8_g1u1_vs_multix_gelu_1tg_32x128.co:	file format elf64-amdgpu

Disassembly of section .text:

0000000000002e00 <_ZN5aiter53fmoe_fp16_pertokenInt8_g1u1_vs_multix_gelu_1tg_32x128E>:
	s_and_b32 s1, s1, 0xffff                                   // 000000002E00: 8601FF01 0000FFFF
	s_load_dwordx2 s[8:9], s[0:1], 0x0                         // 000000002E08: C0060200 00000000
	s_load_dwordx2 s[20:21], s[0:1], 0x10                      // 000000002E10: C0060500 00000010
	s_load_dwordx2 s[24:25], s[0:1], 0x20                      // 000000002E18: C0060600 00000020
	s_load_dwordx2 s[50:51], s[0:1], 0x30                      // 000000002E20: C0060C80 00000030
	s_load_dwordx2 s[12:13], s[0:1], 0x40                      // 000000002E28: C0060300 00000040
	s_load_dwordx2 s[28:29], s[0:1], 0x50                      // 000000002E30: C0060700 00000050
	s_load_dwordx2 s[32:33], s[0:1], 0x60                      // 000000002E38: C0060800 00000060
	s_load_dwordx2 s[16:17], s[0:1], 0x70                      // 000000002E40: C0060400 00000070
	s_load_dwordx2 s[36:37], s[0:1], 0x80                      // 000000002E48: C0060900 00000080
	s_load_dwordx2 s[44:45], s[0:1], 0x90                      // 000000002E50: C0060B00 00000090
	s_load_dwordx2 s[40:41], s[0:1], 0xa0                      // 000000002E58: C0060A00 000000A0
	s_load_dwordx2 s[46:47], s[0:1], 0xb0                      // 000000002E60: C0060B80 000000B0
	s_load_dword s64, s[0:1], 0xc0                             // 000000002E68: C0021000 000000C0
	s_load_dword s65, s[0:1], 0xd0                             // 000000002E70: C0021040 000000D0
	s_load_dword s66, s[0:1], 0xe0                             // 000000002E78: C0021080 000000E0
	s_load_dword s67, s[0:1], 0xf0                             // 000000002E80: C00210C0 000000F0
	s_load_dword s68, s[0:1], 0x100                            // 000000002E88: C0021100 00000100
	s_load_dword s69, s[0:1], 0x110                            // 000000002E90: C0021140 00000110
	s_load_dword s70, s[0:1], 0x120                            // 000000002E98: C0021180 00000120
	s_load_dword s71, s[0:1], 0x130                            // 000000002EA0: C00211C0 00000130
	s_load_dword s72, s[0:1], 0x140                            // 000000002EA8: C0021200 00000140
	s_load_dword s73, s[0:1], 0x150                            // 000000002EB0: C0021240 00000150
	s_load_dword s74, s[0:1], 0x160                            // 000000002EB8: C0021280 00000160
	s_load_dword s75, s[0:1], 0x170                            // 000000002EC0: C00212C0 00000170
	s_load_dword s76, s[0:1], 0x180                            // 000000002EC8: C0021300 00000180
	s_load_dword s63, s[0:1], 0x190                            // 000000002ED0: C0020FC0 00000190
	v_lshrrev_b32_e32 v1, 10, v0                               // 000000002ED8: 2002008A
	v_lshrrev_b32_e32 v2, 10, v1                               // 000000002EDC: 2004028A
	v_and_b32_e32 v2, 0x3ff, v2                                // 000000002EE0: 260404FF 000003FF
	v_and_b32_e32 v1, 0x3ff, v1                                // 000000002EE8: 260202FF 000003FF
	v_and_b32_e32 v0, 0x3ff, v0                                // 000000002EF0: 260000FF 000003FF
	v_lshrrev_b32_e32 v3, 6, v0                                // 000000002EF8: 20060086
	v_and_b32_e32 v0, 63, v0                                   // 000000002EFC: 260000BF
	s_mov_b32 s2, s2                                           // 000000002F00: BE820002
	s_mov_b32 s3, s3                                           // 000000002F04: BE830003
	s_mov_b32 s4, s4                                           // 000000002F08: BE840004
	v_readfirstlane_b32 s7, v3                                 // 000000002F0C: 7E0E0503
	s_waitcnt lgkmcnt(0)                                       // 000000002F10: BF8CC07F
	s_and_b32 s51, s51, 0xffff                                 // 000000002F14: 8633FF33 0000FFFF
	s_load_dword s50, s[50:51], 0x0                            // 000000002F1C: C0020C99 00000000
	s_and_b32 s45, s45, 0xffff                                 // 000000002F24: 862DFF2D 0000FFFF
	s_and_b32 s47, s47, 0xffff                                 // 000000002F2C: 862FFF2F 0000FFFF
	s_and_b32 s9, s9, 0xffff                                   // 000000002F34: 8609FF09 0000FFFF
	s_mul_i32 s60, s66, s68                                    // 000000002F3C: 923C4442
	s_mul_i32 s60, s63, s60                                    // 000000002F40: 923C3C3F
	s_mul_i32 s61, s66, 4                                      // 000000002F44: 923D8442
	s_mul_i32 s61, s63, s61                                    // 000000002F48: 923D3D3F
	s_mov_b32 s22, s60                                         // 000000002F4C: BE96003C
	s_mov_b32 s26, -16                                         // 000000002F50: BE9A00D0
	s_mov_b32 s14, -16                                         // 000000002F54: BE8E00D0
	s_mov_b32 s42, -16                                         // 000000002F58: BEAA00D0
	s_mov_b32 s30, s61                                         // 000000002F5C: BE9E003D
	s_mov_b32 s34, 0x200                                       // 000000002F60: BEA200FF 00000200
	s_mov_b32 s38, 0x200                                       // 000000002F68: BEA600FF 00000200
	s_mov_b32 s18, -16                                         // 000000002F70: BE9200D0
	s_mov_b32 s23, 0x20000                                     // 000000002F74: BE9700FF 00020000
	s_mov_b32 s27, 0x20000                                     // 000000002F7C: BE9B00FF 00020000
	s_mov_b32 s15, 0x20000                                     // 000000002F84: BE8F00FF 00020000
	s_mov_b32 s43, 0x20000                                     // 000000002F8C: BEAB00FF 00020000
	s_mov_b32 s31, 0x20000                                     // 000000002F94: BE9F00FF 00020000
	s_mov_b32 s35, 0x20000                                     // 000000002F9C: BEA300FF 00020000
	s_mov_b32 s39, 0x20000                                     // 000000002FA4: BEA700FF 00020000
	s_mov_b32 s19, 0x20000                                     // 000000002FAC: BE9300FF 00020000
	s_and_b32 s21, s21, 0xffff                                 // 000000002FB4: 8615FF15 0000FFFF
	s_and_b32 s25, s25, 0xffff                                 // 000000002FBC: 8619FF19 0000FFFF
	s_and_b32 s13, s13, 0xffff                                 // 000000002FC4: 860DFF0D 0000FFFF
	s_and_b32 s41, s41, 0xffff                                 // 000000002FCC: 8629FF29 0000FFFF
	s_and_b32 s29, s29, 0xffff                                 // 000000002FD4: 861DFF1D 0000FFFF
	s_and_b32 s33, s33, 0xffff                                 // 000000002FDC: 8621FF21 0000FFFF
	s_and_b32 s37, s37, 0xffff                                 // 000000002FE4: 8625FF25 0000FFFF
	s_and_b32 s17, s17, 0xffff                                 // 000000002FEC: 8611FF11 0000FFFF
	s_or_b32 s21, s21, 0x40000                                 // 000000002FF4: 8715FF15 00040000
	s_or_b32 s25, s25, 0x40000                                 // 000000002FFC: 8719FF19 00040000
	s_or_b32 s13, s13, 0x40000                                 // 000000003004: 870DFF0D 00040000
	s_or_b32 s41, s41, 0x40000                                 // 00000000300C: 8729FF29 00040000
	s_or_b32 s29, s29, 0x40000                                 // 000000003014: 871DFF1D 00040000
	s_or_b32 s33, s33, 0x40000                                 // 00000000301C: 8721FF21 00040000
	s_or_b32 s37, s37, 0x40000                                 // 000000003024: 8725FF25 00040000
	s_or_b32 s17, s17, 0x40000                                 // 00000000302C: 8711FF11 00040000
	v_accvgpr_write_b32 a63, 0                                 // 000000003034: D3D9403F 18000080
	v_mov_b32_e32 v207, 0                                      // 00000000303C: 7F9E0280
	s_waitcnt lgkmcnt(0)                                       // 000000003040: BF8CC07F
	s_mul_i32 s60, s3, 32                                      // 000000003044: 923CA003
	s_cmp_lt_i32 s60, s50                                      // 000000003048: BF04323C
	s_cbranch_scc0 label_112F                                  // 00000000304C: BF84109B
	s_mov_b32 s80, 0                                           // 000000003050: BED00080
	s_mov_b32 s81, s64                                         // 000000003054: BED10040
	s_mul_i32 s60, s3, 4                                       // 000000003058: 923C8403
	s_add_u32 s46, s60, s46                                    // 00000000305C: 802E2E3C
	s_addc_u32 s47, 0, s47                                     // 000000003060: 822F2F80
	s_load_dword s5, s[46:47], 0x0                             // 000000003064: C0020157 00000000
	s_mul_i32 s60, s3, 32                                      // 00000000306C: 923CA003
	s_mul_i32 s60, 4, s60                                      // 000000003070: 923C3C84
	v_and_b32_e32 v44, 15, v0                                  // 000000003074: 2658008F
	v_lshlrev_b32_e32 v44, 2, v44                              // 000000003078: 24585882
	v_add_u32_e32 v44, s60, v44                                // 00000000307C: 6858583C
	v_mov_b32_e32 v45, 0                                       // 000000003080: 7E5A0280
	global_load_dword v6, v44, s[44:45]                        // 000000003084: DC508000 062C002C
	v_add_u32_e32 v44, 64, v44                                 // 00000000308C: 685858C0
	global_load_dword v7, v44, s[44:45]                        // 000000003090: DC508000 072C002C
	s_mul_i32 s60, s3, 32                                      // 000000003098: 923CA003
	s_add_u32 s60, s7, s60                                     // 00000000309C: 803C3C07
	s_mul_i32 s60, 4, s60                                      // 0000000030A0: 923C3C84
	s_add_u32 s44, s60, s44                                    // 0000000030A4: 802C2C3C
	s_addc_u32 s45, 0, s45                                     // 0000000030A8: 822D2D80
	s_load_dword s82, s[44:45], 0x0                            // 0000000030AC: C0021496 00000000
	s_load_dword s83, s[44:45], 0x10                           // 0000000030B4: C00214D6 00000010
	s_load_dword s84, s[44:45], 0x20                           // 0000000030BC: C0021516 00000020
	s_load_dword s85, s[44:45], 0x30                           // 0000000030C4: C0021556 00000030
	s_load_dword s86, s[44:45], 0x40                           // 0000000030CC: C0021596 00000040
	s_load_dword s87, s[44:45], 0x50                           // 0000000030D4: C00215D6 00000050
	s_load_dword s88, s[44:45], 0x60                           // 0000000030DC: C0021616 00000060
	s_load_dword s89, s[44:45], 0x70                           // 0000000030E4: C0021656 00000070
	s_waitcnt lgkmcnt(0)                                       // 0000000030EC: BF8CC07F
	v_lshlrev_b32_e32 v44, 2, v0                               // 0000000030F0: 24580082
	s_lshr_b32 s61, s82, 24                                    // 0000000030F4: 8F3D9852
	s_mul_i32 s61, s61, s68                                    // 0000000030F8: 923D443D
	s_mul_i32 s61, s61, s66                                    // 0000000030FC: 923D423D
	s_and_b32 s82, s82, 0xffffff                               // 000000003100: 8652FF52 00FFFFFF
	s_mul_i32 s60, s82, s68                                    // 000000003108: 923C4452
	s_add_u32 s60, s61, s60                                    // 00000000310C: 803C3C3D
	v_add_u32_e64 v24, v44, s60                                // 000000003110: D1340018 0000792C
	s_lshr_b32 s61, s83, 24                                    // 000000003118: 8F3D9853
	s_mul_i32 s61, s61, s68                                    // 00000000311C: 923D443D
	s_mul_i32 s61, s61, s66                                    // 000000003120: 923D423D
	s_and_b32 s83, s83, 0xffffff                               // 000000003124: 8653FF53 00FFFFFF
	s_mul_i32 s60, s83, s68                                    // 00000000312C: 923C4453
	s_add_u32 s60, s61, s60                                    // 000000003130: 803C3C3D
	v_add_u32_e64 v25, v44, s60                                // 000000003134: D1340019 0000792C
	s_lshr_b32 s61, s84, 24                                    // 00000000313C: 8F3D9854
	s_mul_i32 s61, s61, s68                                    // 000000003140: 923D443D
	s_mul_i32 s61, s61, s66                                    // 000000003144: 923D423D
	s_and_b32 s84, s84, 0xffffff                               // 000000003148: 8654FF54 00FFFFFF
	s_mul_i32 s60, s84, s68                                    // 000000003150: 923C4454
	s_add_u32 s60, s61, s60                                    // 000000003154: 803C3C3D
	v_add_u32_e64 v26, v44, s60                                // 000000003158: D134001A 0000792C
	s_lshr_b32 s61, s85, 24                                    // 000000003160: 8F3D9855
	s_mul_i32 s61, s61, s68                                    // 000000003164: 923D443D
	s_mul_i32 s61, s61, s66                                    // 000000003168: 923D423D
	s_and_b32 s85, s85, 0xffffff                               // 00000000316C: 8655FF55 00FFFFFF
	s_mul_i32 s60, s85, s68                                    // 000000003174: 923C4455
	s_add_u32 s60, s61, s60                                    // 000000003178: 803C3C3D
	v_add_u32_e64 v27, v44, s60                                // 00000000317C: D134001B 0000792C
	s_lshr_b32 s61, s86, 24                                    // 000000003184: 8F3D9856
	s_mul_i32 s61, s61, s68                                    // 000000003188: 923D443D
	s_mul_i32 s61, s61, s66                                    // 00000000318C: 923D423D
	s_and_b32 s86, s86, 0xffffff                               // 000000003190: 8656FF56 00FFFFFF
	s_mul_i32 s60, s86, s68                                    // 000000003198: 923C4456
	s_add_u32 s60, s61, s60                                    // 00000000319C: 803C3C3D
	v_add_u32_e64 v28, v44, s60                                // 0000000031A0: D134001C 0000792C
	s_lshr_b32 s61, s87, 24                                    // 0000000031A8: 8F3D9857
	s_mul_i32 s61, s61, s68                                    // 0000000031AC: 923D443D
	s_mul_i32 s61, s61, s66                                    // 0000000031B0: 923D423D
	s_and_b32 s87, s87, 0xffffff                               // 0000000031B4: 8657FF57 00FFFFFF
	s_mul_i32 s60, s87, s68                                    // 0000000031BC: 923C4457
	s_add_u32 s60, s61, s60                                    // 0000000031C0: 803C3C3D
	v_add_u32_e64 v29, v44, s60                                // 0000000031C4: D134001D 0000792C
	s_lshr_b32 s61, s88, 24                                    // 0000000031CC: 8F3D9858
	s_mul_i32 s61, s61, s68                                    // 0000000031D0: 923D443D
	s_mul_i32 s61, s61, s66                                    // 0000000031D4: 923D423D
	s_and_b32 s88, s88, 0xffffff                               // 0000000031D8: 8658FF58 00FFFFFF
	s_mul_i32 s60, s88, s68                                    // 0000000031E0: 923C4458
	s_add_u32 s60, s61, s60                                    // 0000000031E4: 803C3C3D
	v_add_u32_e64 v30, v44, s60                                // 0000000031E8: D134001E 0000792C
	s_lshr_b32 s61, s89, 24                                    // 0000000031F0: 8F3D9859
	s_mul_i32 s61, s61, s68                                    // 0000000031F4: 923D443D
	s_mul_i32 s61, s61, s66                                    // 0000000031F8: 923D423D
	s_and_b32 s89, s89, 0xffffff                               // 0000000031FC: 8659FF59 00FFFFFF
	s_mul_i32 s60, s89, s68                                    // 000000003204: 923C4459
	s_add_u32 s60, s61, s60                                    // 000000003208: 803C3C3D
	v_add_u32_e64 v31, v44, s60                                // 00000000320C: D134001F 0000792C
	v_lshlrev_b32_e32 v44, 2, v0                               // 000000003214: 24580082
	s_mul_i32 s60, s82, s71                                    // 000000003218: 923C4752
	v_add_u32_e64 v80, v44, s60                                // 00000000321C: D1340050 0000792C
	v_mov_b32_e32 v81, 0                                       // 000000003224: 7EA20280
	s_mul_i32 s60, s83, s71                                    // 000000003228: 923C4753
	v_add_u32_e64 v82, v44, s60                                // 00000000322C: D1340052 0000792C
	v_mov_b32_e32 v83, 0                                       // 000000003234: 7EA60280
	s_mul_i32 s60, s84, s71                                    // 000000003238: 923C4754
	v_add_u32_e64 v84, v44, s60                                // 00000000323C: D1340054 0000792C
	v_mov_b32_e32 v85, 0                                       // 000000003244: 7EAA0280
	s_mul_i32 s60, s85, s71                                    // 000000003248: 923C4755
	v_add_u32_e64 v86, v44, s60                                // 00000000324C: D1340056 0000792C
	v_mov_b32_e32 v87, 0                                       // 000000003254: 7EAE0280
	s_mul_i32 s60, s86, s71                                    // 000000003258: 923C4756
	v_add_u32_e64 v88, v44, s60                                // 00000000325C: D1340058 0000792C
	v_mov_b32_e32 v89, 0                                       // 000000003264: 7EB20280
	s_mul_i32 s60, s87, s71                                    // 000000003268: 923C4757
	v_add_u32_e64 v90, v44, s60                                // 00000000326C: D134005A 0000792C
	v_mov_b32_e32 v91, 0                                       // 000000003274: 7EB60280
	s_mul_i32 s60, s88, s71                                    // 000000003278: 923C4758
	v_add_u32_e64 v92, v44, s60                                // 00000000327C: D134005C 0000792C
	v_mov_b32_e32 v93, 0                                       // 000000003284: 7EBA0280
	s_mul_i32 s60, s89, s71                                    // 000000003288: 923C4759
	v_add_u32_e64 v94, v44, s60                                // 00000000328C: D134005E 0000792C
	v_mov_b32_e32 v95, 0                                       // 000000003294: 7EBE0280
	s_mul_i32 s60, s7, 0x820                                   // 000000003298: 923CFF07 00000820
	s_add_u32 s50, 0, s60                                      // 0000000032A0: 80323C80
	s_add_u32 s51, 0x2080, s50                                 // 0000000032A4: 803332FF 00002080
	v_lshrrev_b32_e32 v44, 4, v0                               // 0000000032AC: 20580084
	v_lshlrev_b32_e32 v45, 2, v44                              // 0000000032B0: 245A5882
	v_and_b32_e32 v44, 15, v0                                  // 0000000032B4: 2658008F
	v_lshrrev_b32_e32 v46, 2, v44                              // 0000000032B8: 205C5882
	v_lshlrev_b32_e32 v46, 6, v46                              // 0000000032BC: 245C5C86
	v_add_u32_e32 v45, v46, v45                                // 0000000032C0: 685A5B2E
	v_and_b32_e32 v44, 3, v0                                   // 0000000032C4: 26580083
	v_mul_i32_i24_e32 v46, 0x208, v44                          // 0000000032C8: 0C5C58FF 00000208
	v_add_u32_e32 v45, v46, v45                                // 0000000032D0: 685A5B2E
	v_lshlrev_b32_e32 v2, 2, v45                               // 0000000032D4: 24045A82
	s_mul_i32 s60, s2, 0x80                                    // 0000000032D8: 923CFF02 00000080
	s_mul_i32 s60, s60, s69                                    // 0000000032E0: 923C453C
	s_mul_i32 s61, s5, s72                                     // 0000000032E4: 923D4805
	s_add_u32 s60, s61, s60                                    // 0000000032E8: 803C3C3D
	s_add_u32 s24, s60, s24                                    // 0000000032EC: 8018183C
	s_addc_u32 s25, 0, s25                                     // 0000000032F0: 82191980
	s_mul_i32 s60, s7, 16                                      // 0000000032F4: 923C9007
	s_mul_i32 s60, s60, s69                                    // 0000000032F8: 923C453C
	v_lshlrev_b32_e32 v32, 4, v0                               // 0000000032FC: 24400084
	v_add_u32_e32 v32, s60, v32                                // 000000003300: 6840403C
	s_mul_i32 s60, 64, s69                                     // 000000003304: 923C45C0
	v_add_u32_e32 v33, s60, v32                                // 000000003308: 6842403C
	s_mov_b32 s92, s24                                         // 00000000330C: BEDC0018
	s_mov_b32 s93, s25                                         // 000000003310: BEDD0019
	s_mov_b32 s94, s26                                         // 000000003314: BEDE001A
	s_mov_b32 s95, s27                                         // 000000003318: BEDF001B
	s_mul_i32 s60, s69, s65                                    // 00000000331C: 923C4145
	s_add_u32 s92, s60, s92                                    // 000000003320: 805C5C3C
	s_addc_u32 s93, 0, s93                                     // 000000003324: 825D5D80
	s_mul_i32 s60, s2, 0x800                                   // 000000003328: 923CFF02 00000800
	s_mul_i32 s61, s5, s73                                     // 000000003330: 923D4905
	s_add_u32 s60, s61, s60                                    // 000000003334: 803C3C3D
	s_add_u32 s12, s60, s12                                    // 000000003338: 800C0C3C
	s_addc_u32 s13, 0, s13                                     // 00000000333C: 820D0D80
	s_mul_i32 s60, s7, 16                                      // 000000003340: 923C9007
	s_mul_i32 s60, s60, s70                                    // 000000003344: 923C463C
	v_lshlrev_b32_e32 v34, 4, v0                               // 000000003348: 24440084
	v_add_u32_e32 v34, s60, v34                                // 00000000334C: 6844443C
	s_mul_i32 s60, 64, s70                                     // 000000003350: 923C46C0
	v_add_u32_e32 v35, s60, v34                                // 000000003354: 6846443C
	v_add_u32_e32 v36, s60, v35                                // 000000003358: 6848463C
	v_add_u32_e32 v37, s60, v36                                // 00000000335C: 684A483C
	s_mul_i32 s60, s70, 0x100                                  // 000000003360: 923CFF46 00000100
	s_mov_b32 s78, 0x400                                       // 000000003368: BECE00FF 00000400
	s_mul_i32 s61, s78, 1                                      // 000000003370: 923D814E
	s_sub_u32 s56, s60, s61                                    // 000000003374: 80B83D3C
	s_mul_i32 s60, s3, 32                                      // 000000003378: 923CA003
	s_mul_i32 s60, 4, s60                                      // 00000000337C: 923C3C84
	s_add_u32 s40, s60, s40                                    // 000000003380: 8028283C
	s_addc_u32 s41, 0, s41                                     // 000000003384: 82292980
	v_and_b32_e32 v44, 15, v0                                  // 000000003388: 2658008F
	v_lshlrev_b32_e32 v8, 2, v44                               // 00000000338C: 24105882
	v_add_u32_e32 v9, 64, v8                                   // 000000003390: 681210C0
	v_lshrrev_b32_e32 v44, 4, v0                               // 000000003394: 20580084
	v_lshlrev_b32_e32 v45, 2, v44                              // 000000003398: 245A5882
	v_and_b32_e32 v44, 15, v0                                  // 00000000339C: 2658008F
	v_lshrrev_b32_e32 v46, 2, v44                              // 0000000033A0: 205C5882
	v_lshlrev_b32_e32 v46, 6, v46                              // 0000000033A4: 245C5C86
	v_add_u32_e32 v45, v46, v45                                // 0000000033A8: 685A5B2E
	v_and_b32_e32 v44, 3, v0                                   // 0000000033AC: 26580083
	v_add_u32_e32 v45, v44, v45                                // 0000000033B0: 685A5B2C
	v_lshlrev_b32_e32 v10, 2, v45                              // 0000000033B4: 24145A82
	v_add_u32_e32 v11, 0x400, v10                              // 0000000033B8: 681614FF 00000400
	s_mul_i32 s60, s7, 16                                      // 0000000033C0: 923C9007
	s_mul_i32 s60, s60, 4                                      // 0000000033C4: 923C843C
	v_add_u32_e32 v10, s60, v10                                // 0000000033C8: 6814143C
	v_add_u32_e32 v11, s60, v11                                // 0000000033CC: 6816163C
	v_mov_b32_e32 v5, v10                                      // 0000000033D0: 7E0A030A
	s_mul_i32 s60, s2, 0x80                                    // 0000000033D4: 923CFF02 00000080
	s_mul_i32 s60, s60, 4                                      // 0000000033DC: 923C843C
	s_mul_i32 s61, s5, s74                                     // 0000000033E0: 923D4A05
	s_add_u32 s61, s61, s60                                    // 0000000033E4: 803D3C3D
	s_mul_i32 s62, s5, s76                                     // 0000000033E8: 923E4C05
	s_add_u32 s62, s62, s60                                    // 0000000033EC: 803E3C3E
	s_add_u32 s32, s61, s32                                    // 0000000033F0: 8020203D
	s_addc_u32 s33, 0, s33                                     // 0000000033F4: 82212180
	s_add_u32 s36, s62, s36                                    // 0000000033F8: 8024243E
	s_addc_u32 s37, 0, s37                                     // 0000000033FC: 82252580
	s_mul_i32 s60, s5, s75                                     // 000000003400: 923C4B05
	s_add_u32 s16, s60, s16                                    // 000000003404: 8010103C
	s_addc_u32 s17, 0, s17                                     // 000000003408: 82111180
	s_mov_b32 s57, 0x100                                       // 00000000340C: BEB900FF 00000100
	s_mov_b32 s58, 0x1000                                      // 000000003414: BEBA00FF 00001000
	s_mov_b32 s79, 0x400                                       // 00000000341C: BECF00FF 00000400
	s_mov_b32 s59, 0x200                                       // 000000003424: BEBB00FF 00000200
	s_mov_b32 s90, s58                                         // 00000000342C: BEDA003A
	s_mov_b32 s52, 0x7060302                                   // 000000003430: BEB400FF 07060302
	s_mov_b32 s53, 0x400                                       // 000000003438: BEB500FF 00000400
	s_mov_b32 s54, 0x40100                                     // 000000003440: BEB600FF 00040100
	s_mov_b32 s55, 0x4020100                                   // 000000003448: BEB700FF 04020100
	s_mov_b32 s6, 0x3fb8aa3b                                   // 000000003450: BE8600FF 3FB8AA3B
	s_mov_b32 s77, 0xbd92220c                                  // 000000003458: BECD00FF BD92220C
	s_mov_b32 m0, s50                                          // 000000003460: BEFC0032
	v_mov_b32_e32 v1, 0xbfcc4231                               // 000000003464: 7E0202FF BFCC4231
	v_mov_b32_e32 v39, 0xffff0000                              // 00000000346C: 7E4E02FF FFFF0000
	v_mov_b32_e32 v40, 0x7fff0000                              // 000000003474: 7E5002FF 7FFF0000
	v_mov_b32_e32 v41, 0x7fff                                  // 00000000347C: 7E5202FF 00007FFF
	s_waitcnt vmcnt(0) expcnt(0) lgkmcnt(0)                    // 000000003484: BF8C0000
	v_lshrrev_b32_e32 v44, 24, v6                              // 000000003488: 20580C98
	v_mul_i32_i24_e32 v44, s66, v44                            // 00000000348C: 0C585842
	v_and_b32_e32 v45, 0xffffff, v6                            // 000000003490: 265A0CFF 00FFFFFF
	v_add_u32_e32 v6, v44, v45                                 // 000000003498: 680C5B2C
	v_lshrrev_b32_e32 v44, 24, v7                              // 00000000349C: 20580E98
	v_mul_i32_i24_e32 v44, s66, v44                            // 0000000034A0: 0C585842
	v_and_b32_e32 v45, 0xffffff, v7                            // 0000000034A4: 265A0EFF 00FFFFFF
	v_add_u32_e32 v7, v44, v45                                 // 0000000034AC: 680E5B2C
	v_lshlrev_b32_e32 v6, 2, v6                                // 0000000034B0: 240C0C82
	v_lshlrev_b32_e32 v7, 2, v7                                // 0000000034B4: 240E0E82
	buffer_load_dword v13, v6, s[28:31], 0 offen               // 0000000034B8: E0501000 80070D06
	buffer_load_dword v14, v7, s[28:31], 0 offen               // 0000000034C0: E0501000 80070E07
	buffer_load_dword v15, v10, s[32:35], 0 offen              // 0000000034C8: E0501000 80080F0A
	buffer_load_dword v16, v11, s[32:35], 0 offen              // 0000000034D0: E0501000 8008100B
	s_mul_i32 s60, 4, s65                                      // 0000000034D8: 923C4184
	s_add_u32 s32, s60, s32                                    // 0000000034DC: 8020203C
	s_addc_u32 s33, 0, s33                                     // 0000000034E0: 82212180
	buffer_load_dword v42, v10, s[32:35], 0 offen              // 0000000034E4: E0501000 80082A0A
	buffer_load_dword v43, v11, s[32:35], 0 offen              // 0000000034EC: E0501000 80082B0B
	buffer_load_dword v16, v10, s[36:39], 0 offen              // 0000000034F4: E0501000 8009100A
	buffer_load_dword v17, v11, s[36:39], 0 offen              // 0000000034FC: E0501000 8009110B
	buffer_load_dword v17, v8, s[40:43], 0 offen               // 000000003504: E0501000 800A1108
	buffer_load_dword v18, v9, s[40:43], 0 offen               // 00000000350C: E0501000 800A1209
	buffer_load_dword v24, s[20:23], 0 offen lds               // 000000003514: E0511000 80050018
	s_add_u32 m0, 0x100, s50                                   // 00000000351C: 807C32FF 00000100
	buffer_load_dword v25, s[20:23], 0 offen lds               // 000000003524: E0511000 80050019
	s_add_u32 m0, 0x200, s50                                   // 00000000352C: 807C32FF 00000200
	buffer_load_dword v26, s[20:23], 0 offen lds               // 000000003534: E0511000 8005001A
	s_add_u32 m0, 0x300, s50                                   // 00000000353C: 807C32FF 00000300
	buffer_load_dword v27, s[20:23], 0 offen lds               // 000000003544: E0511000 8005001B
	s_add_u32 m0, 0x400, s50                                   // 00000000354C: 807C32FF 00000400
	buffer_load_dword v28, s[20:23], 0 offen lds               // 000000003554: E0511000 8005001C
	s_add_u32 m0, 0x500, s50                                   // 00000000355C: 807C32FF 00000500
	buffer_load_dword v29, s[20:23], 0 offen lds               // 000000003564: E0511000 8005001D
	s_add_u32 m0, 0x600, s50                                   // 00000000356C: 807C32FF 00000600
	buffer_load_dword v30, s[20:23], 0 offen lds               // 000000003574: E0511000 8005001E
	s_add_u32 m0, 0x700, s50                                   // 00000000357C: 807C32FF 00000700
	buffer_load_dword v31, s[20:23], 0 offen lds               // 000000003584: E0511000 8005001F
	s_add_u32 m0, 0, s51                                       // 00000000358C: 807C3380
	s_add_u32 s20, s57, s20                                    // 000000003590: 80141439
	s_addc_u32 s21, 0, s21                                     // 000000003594: 82151580
	buffer_load_dwordx4 a[0:3], v32, s[24:27], 0 offen         // 000000003598: E05C1000 80860020
	buffer_load_dwordx4 a[4:7], v32, s[24:27], 0 offen offset:1024// 0000000035A0: E05C1400 80860420
	buffer_load_dwordx4 a[8:11], v32, s[24:27], 0 offen offset:2048// 0000000035A8: E05C1800 80860820
	buffer_load_dwordx4 a[12:15], v32, s[24:27], 0 offen offset:3072// 0000000035B0: E05C1C00 80860C20
	buffer_load_dwordx4 a[16:19], v33, s[24:27], 0 offen       // 0000000035B8: E05C1000 80861021
	buffer_load_dwordx4 a[20:23], v33, s[24:27], 0 offen offset:1024// 0000000035C0: E05C1400 80861421
	buffer_load_dwordx4 a[24:27], v33, s[24:27], 0 offen offset:2048// 0000000035C8: E05C1800 80861821
	buffer_load_dwordx4 a[28:31], v33, s[24:27], 0 offen offset:3072// 0000000035D0: E05C1C00 80861C21
	s_add_u32 s24, s58, s24                                    // 0000000035D8: 8018183A
	s_addc_u32 s25, 0, s25                                     // 0000000035DC: 82191980
	v_mov_b32_e32 v128, 0                                      // 0000000035E0: 7F000280
	v_mov_b32_e32 v64, 0                                       // 0000000035E4: 7E800280
	v_mov_b32_e32 v129, 0                                      // 0000000035E8: 7F020280
	v_mov_b32_e32 v65, 0                                       // 0000000035EC: 7E820280
	v_mov_b32_e32 v130, 0                                      // 0000000035F0: 7F040280
	v_mov_b32_e32 v66, 0                                       // 0000000035F4: 7E840280
	v_mov_b32_e32 v131, 0                                      // 0000000035F8: 7F060280
	v_mov_b32_e32 v67, 0                                       // 0000000035FC: 7E860280
	v_mov_b32_e32 v132, 0                                      // 000000003600: 7F080280
	v_mov_b32_e32 v68, 0                                       // 000000003604: 7E880280
	v_mov_b32_e32 v133, 0                                      // 000000003608: 7F0A0280
	v_mov_b32_e32 v69, 0                                       // 00000000360C: 7E8A0280
	v_mov_b32_e32 v134, 0                                      // 000000003610: 7F0C0280
	v_mov_b32_e32 v70, 0                                       // 000000003614: 7E8C0280
	v_mov_b32_e32 v135, 0                                      // 000000003618: 7F0E0280
	v_mov_b32_e32 v71, 0                                       // 00000000361C: 7E8E0280
	v_mov_b32_e32 v136, 0                                      // 000000003620: 7F100280
	v_mov_b32_e32 v72, 0                                       // 000000003624: 7E900280
	v_mov_b32_e32 v137, 0                                      // 000000003628: 7F120280
	v_mov_b32_e32 v73, 0                                       // 00000000362C: 7E920280
	v_mov_b32_e32 v138, 0                                      // 000000003630: 7F140280
	v_mov_b32_e32 v74, 0                                       // 000000003634: 7E940280
	v_mov_b32_e32 v139, 0                                      // 000000003638: 7F160280
	v_mov_b32_e32 v75, 0                                       // 00000000363C: 7E960280
	v_mov_b32_e32 v140, 0                                      // 000000003640: 7F180280
	v_mov_b32_e32 v76, 0                                       // 000000003644: 7E980280
	v_mov_b32_e32 v141, 0                                      // 000000003648: 7F1A0280
	v_mov_b32_e32 v77, 0                                       // 00000000364C: 7E9A0280
	v_mov_b32_e32 v142, 0                                      // 000000003650: 7F1C0280
	v_mov_b32_e32 v78, 0                                       // 000000003654: 7E9C0280
	v_mov_b32_e32 v143, 0                                      // 000000003658: 7F1E0280
	v_mov_b32_e32 v79, 0                                       // 00000000365C: 7E9E0280
	v_lshrrev_b32_e32 v44, 4, v0                               // 000000003660: 20580084
	v_mul_i32_i24_e32 v3, 34, v44                              // 000000003664: 0C0658A2
	v_and_b32_e32 v44, 15, v0                                  // 000000003668: 2658008F
	v_mul_i32_i24_e32 v45, 2, v44                              // 00000000366C: 0C5A5882
	v_add_u32_e32 v3, v45, v3                                  // 000000003670: 6806072D
	s_mul_i32 s60, s7, 0x88                                    // 000000003674: 923CFF07 00000088
	v_add_u32_e32 v3, s60, v3                                  // 00000000367C: 6806063C
	v_lshlrev_b32_e32 v3, 2, v3                                // 000000003680: 24060682
	v_lshrrev_b32_e32 v44, 1, v0                               // 000000003684: 20580081
	v_mul_i32_i24_e32 v4, 34, v44                              // 000000003688: 0C0858A2
	v_and_b32_e32 v45, 1, v0                                   // 00000000368C: 265A0081
	v_add_u32_e32 v4, v45, v4                                  // 000000003690: 6808092D
	s_mul_i32 s60, s7, 2                                       // 000000003694: 923C8207
	v_add_u32_e32 v4, s60, v4                                  // 000000003698: 6808083C
	v_lshlrev_b32_e32 v4, 2, v4                                // 00000000369C: 24080882
	s_waitcnt vmcnt(8)                                         // 0000000036A0: BF8C0F78
	s_barrier                                                  // 0000000036A4: BF8A0000
	ds_read_b128 v[144:147], v2                                // 0000000036A8: D9FE0000 90000002
	ds_read_b128 v[148:151], v2 offset:64                      // 0000000036B0: D9FE0040 94000002
	ds_read_b128 v[152:155], v2 offset:128                     // 0000000036B8: D9FE0080 98000002
	ds_read_b128 v[156:159], v2 offset:192                     // 0000000036C0: D9FE00C0 9C000002
	ds_read_b128 v[160:163], v2 offset:1024                    // 0000000036C8: D9FE0400 A0000002
	ds_read_b128 v[164:167], v2 offset:1088                    // 0000000036D0: D9FE0440 A4000002
	ds_read_b128 v[168:171], v2 offset:1152                    // 0000000036D8: D9FE0480 A8000002
	ds_read_b128 v[172:175], v2 offset:1216                    // 0000000036E0: D9FE04C0 AC000002
	s_cmp_lt_i32 s7, 2                                         // 0000000036E8: BF048207
	s_cbranch_scc0 label_09B7                                  // 0000000036EC: BF84077B

00000000000036f0 <label_023C>:
	s_waitcnt vmcnt(0) lgkmcnt(0)                              // 0000000036F0: BF8C0070
	s_barrier                                                  // 0000000036F4: BF8A0000
	v_mfma_i32_16x16x32_i8 v[128:131], a[0:1], v[144:145], v[128:131]// 0000000036F8: D3D70080 0E032100
	v_mfma_i32_16x16x32_i8 v[128:131], a[2:3], v[146:147], v[128:131]// 000000003700: D3D70080 0E032502
	buffer_load_dwordx4 a[32:35], v32, s[92:95], 0 offen       // 000000003708: E05C1000 80972020
	v_mfma_i32_16x16x32_i8 v[128:131], a[4:5], v[148:149], v[128:131]// 000000003710: D3D70080 0E032904
	v_mfma_i32_16x16x32_i8 v[128:131], a[6:7], v[150:151], v[128:131]// 000000003718: D3D70080 0E032D06
	buffer_load_dword v24, s[20:23], 0 offen lds               // 000000003720: E0511000 80050018
	s_add_u32 m0, 0x100, s51                                   // 000000003728: 807C33FF 00000100
	v_mfma_i32_16x16x32_i8 v[128:131], a[8:9], v[152:153], v[128:131]// 000000003730: D3D70080 0E033108
	v_mfma_i32_16x16x32_i8 v[128:131], a[10:11], v[154:155], v[128:131]// 000000003738: D3D70080 0E03350A
	buffer_load_dwordx4 a[36:39], v32, s[92:95], 0 offen offset:1024// 000000003740: E05C1400 80972420
	v_mfma_i32_16x16x32_i8 v[128:131], a[12:13], v[156:157], v[128:131]// 000000003748: D3D70080 0E03390C
	v_mfma_i32_16x16x32_i8 v[128:131], a[14:15], v[158:159], v[128:131]// 000000003750: D3D70080 0E033D0E
	buffer_load_dword v25, s[20:23], 0 offen lds               // 000000003758: E0511000 80050019
	s_add_u32 m0, 0x200, s51                                   // 000000003760: 807C33FF 00000200
	v_mfma_i32_16x16x32_i8 v[132:135], a[0:1], v[160:161], v[132:135]// 000000003768: D3D70084 0E134100
	v_mfma_i32_16x16x32_i8 v[132:135], a[2:3], v[162:163], v[132:135]// 000000003770: D3D70084 0E134502
	buffer_load_dwordx4 a[40:43], v32, s[92:95], 0 offen offset:2048// 000000003778: E05C1800 80972820
	v_mfma_i32_16x16x32_i8 v[132:135], a[4:5], v[164:165], v[132:135]// 000000003780: D3D70084 0E134904
	v_mfma_i32_16x16x32_i8 v[132:135], a[6:7], v[166:167], v[132:135]// 000000003788: D3D70084 0E134D06
	buffer_load_dword v26, s[20:23], 0 offen lds               // 000000003790: E0511000 8005001A
	s_add_u32 m0, 0x300, s51                                   // 000000003798: 807C33FF 00000300
	v_mfma_i32_16x16x32_i8 v[132:135], a[8:9], v[168:169], v[132:135]// 0000000037A0: D3D70084 0E135108
	v_mfma_i32_16x16x32_i8 v[132:135], a[10:11], v[170:171], v[132:135]// 0000000037A8: D3D70084 0E13550A
	buffer_load_dwordx4 a[44:47], v32, s[92:95], 0 offen offset:3072// 0000000037B0: E05C1C00 80972C20
	v_mfma_i32_16x16x32_i8 v[132:135], a[12:13], v[172:173], v[132:135]// 0000000037B8: D3D70084 0E13590C
	v_mfma_i32_16x16x32_i8 v[132:135], a[14:15], v[174:175], v[132:135]// 0000000037C0: D3D70084 0E135D0E
	buffer_load_dword v27, s[20:23], 0 offen lds               // 0000000037C8: E0511000 8005001B
	s_add_u32 m0, 0x400, s51                                   // 0000000037D0: 807C33FF 00000400
	v_mfma_i32_16x16x32_i8 v[136:139], a[16:17], v[144:145], v[136:139]// 0000000037D8: D3D70088 0E232110
	v_mfma_i32_16x16x32_i8 v[136:139], a[18:19], v[146:147], v[136:139]// 0000000037E0: D3D70088 0E232512
	buffer_load_dwordx4 a[48:51], v33, s[92:95], 0 offen       // 0000000037E8: E05C1000 80973021
	v_mfma_i32_16x16x32_i8 v[136:139], a[20:21], v[148:149], v[136:139]// 0000000037F0: D3D70088 0E232914
	v_mfma_i32_16x16x32_i8 v[136:139], a[22:23], v[150:151], v[136:139]// 0000000037F8: D3D70088 0E232D16
	buffer_load_dword v28, s[20:23], 0 offen lds               // 000000003800: E0511000 8005001C
	s_add_u32 m0, 0x500, s51                                   // 000000003808: 807C33FF 00000500
	v_mfma_i32_16x16x32_i8 v[136:139], a[24:25], v[152:153], v[136:139]// 000000003810: D3D70088 0E233118
	v_mfma_i32_16x16x32_i8 v[136:139], a[26:27], v[154:155], v[136:139]// 000000003818: D3D70088 0E23351A
	buffer_load_dwordx4 a[52:55], v33, s[92:95], 0 offen offset:1024// 000000003820: E05C1400 80973421
	v_mfma_i32_16x16x32_i8 v[136:139], a[28:29], v[156:157], v[136:139]// 000000003828: D3D70088 0E23391C
	v_mfma_i32_16x16x32_i8 v[136:139], a[30:31], v[158:159], v[136:139]// 000000003830: D3D70088 0E233D1E
	buffer_load_dword v29, s[20:23], 0 offen lds               // 000000003838: E0511000 8005001D
	s_add_u32 m0, 0x600, s51                                   // 000000003840: 807C33FF 00000600
	v_mfma_i32_16x16x32_i8 v[140:143], a[16:17], v[160:161], v[140:143]// 000000003848: D3D7008C 0E334110
	v_mfma_i32_16x16x32_i8 v[140:143], a[18:19], v[162:163], v[140:143]// 000000003850: D3D7008C 0E334512
	buffer_load_dwordx4 a[56:59], v33, s[92:95], 0 offen offset:2048// 000000003858: E05C1800 80973821
	v_mfma_i32_16x16x32_i8 v[140:143], a[20:21], v[164:165], v[140:143]// 000000003860: D3D7008C 0E334914
	v_mfma_i32_16x16x32_i8 v[140:143], a[22:23], v[166:167], v[140:143]// 000000003868: D3D7008C 0E334D16
	buffer_load_dword v30, s[20:23], 0 offen lds               // 000000003870: E0511000 8005001E
	s_add_u32 m0, 0x700, s51                                   // 000000003878: 807C33FF 00000700
	v_mfma_i32_16x16x32_i8 v[140:143], a[24:25], v[168:169], v[140:143]// 000000003880: D3D7008C 0E335118
	v_mfma_i32_16x16x32_i8 v[140:143], a[26:27], v[170:171], v[140:143]// 000000003888: D3D7008C 0E33551A
	buffer_load_dwordx4 a[60:63], v33, s[92:95], 0 offen offset:3072// 000000003890: E05C1C00 80973C21
	v_mfma_i32_16x16x32_i8 v[140:143], a[28:29], v[172:173], v[140:143]// 000000003898: D3D7008C 0E33591C
	v_mfma_i32_16x16x32_i8 v[140:143], a[30:31], v[174:175], v[140:143]// 0000000038A0: D3D7008C 0E335D1E
	buffer_load_dword v31, s[20:23], 0 offen lds               // 0000000038A8: E0511000 8005001F
	s_add_u32 m0, 0, s50                                       // 0000000038B0: 807C3280
	s_waitcnt vmcnt(0)                                         // 0000000038B4: BF8C0F70
	s_barrier                                                  // 0000000038B8: BF8A0000
	v_mfma_i32_16x16x32_i8 v[64:67], a[32:33], v[144:145], v[64:67]// 0000000038BC: D3D70040 0D032120
	v_mfma_i32_16x16x32_i8 v[64:67], a[34:35], v[146:147], v[64:67]// 0000000038C4: D3D70040 0D032522
	buffer_load_dwordx4 a[0:3], v32, s[24:27], 0 offen         // 0000000038CC: E05C1000 80860020
	v_mfma_i32_16x16x32_i8 v[64:67], a[36:37], v[148:149], v[64:67]// 0000000038D4: D3D70040 0D032924
	v_mfma_i32_16x16x32_i8 v[64:67], a[38:39], v[150:151], v[64:67]// 0000000038DC: D3D70040 0D032D26
	ds_read_b128 v[176:179], v2 offset:8320                    // 0000000038E4: D9FE2080 B0000002
	v_mfma_i32_16x16x32_i8 v[64:67], a[40:41], v[152:153], v[64:67]// 0000000038EC: D3D70040 0D033128
	v_mfma_i32_16x16x32_i8 v[64:67], a[42:43], v[154:155], v[64:67]// 0000000038F4: D3D70040 0D03352A
	buffer_load_dwordx4 a[4:7], v32, s[24:27], 0 offen offset:1024// 0000000038FC: E05C1400 80860420
	v_mfma_i32_16x16x32_i8 v[64:67], a[44:45], v[156:157], v[64:67]// 000000003904: D3D70040 0D03392C
	v_mfma_i32_16x16x32_i8 v[64:67], a[46:47], v[158:159], v[64:67]// 00000000390C: D3D70040 0D033D2E
	ds_read_b128 v[180:183], v2 offset:8384                    // 000000003914: D9FE20C0 B4000002
	v_mfma_i32_16x16x32_i8 v[68:71], a[32:33], v[160:161], v[68:71]// 00000000391C: D3D70044 0D134120
	v_mfma_i32_16x16x32_i8 v[68:71], a[34:35], v[162:163], v[68:71]// 000000003924: D3D70044 0D134522
	buffer_load_dwordx4 a[8:11], v32, s[24:27], 0 offen offset:2048// 00000000392C: E05C1800 80860820
	v_mfma_i32_16x16x32_i8 v[68:71], a[36:37], v[164:165], v[68:71]// 000000003934: D3D70044 0D134924
	v_mfma_i32_16x16x32_i8 v[68:71], a[38:39], v[166:167], v[68:71]// 00000000393C: D3D70044 0D134D26
	ds_read_b128 v[184:187], v2 offset:8448                    // 000000003944: D9FE2100 B8000002
	v_mfma_i32_16x16x32_i8 v[68:71], a[40:41], v[168:169], v[68:71]// 00000000394C: D3D70044 0D135128
	v_mfma_i32_16x16x32_i8 v[68:71], a[42:43], v[170:171], v[68:71]// 000000003954: D3D70044 0D13552A
	buffer_load_dwordx4 a[12:15], v32, s[24:27], 0 offen offset:3072// 00000000395C: E05C1C00 80860C20
	v_mfma_i32_16x16x32_i8 v[68:71], a[44:45], v[172:173], v[68:71]// 000000003964: D3D70044 0D13592C
	v_mfma_i32_16x16x32_i8 v[68:71], a[46:47], v[174:175], v[68:71]// 00000000396C: D3D70044 0D135D2E
	ds_read_b128 v[188:191], v2 offset:8512                    // 000000003974: D9FE2140 BC000002
	v_mfma_i32_16x16x32_i8 v[72:75], a[48:49], v[144:145], v[72:75]// 00000000397C: D3D70048 0D232130
	v_mfma_i32_16x16x32_i8 v[72:75], a[50:51], v[146:147], v[72:75]// 000000003984: D3D70048 0D232532
	buffer_load_dwordx4 a[16:19], v33, s[24:27], 0 offen       // 00000000398C: E05C1000 80861021
	v_mfma_i32_16x16x32_i8 v[72:75], a[52:53], v[148:149], v[72:75]// 000000003994: D3D70048 0D232934
	v_mfma_i32_16x16x32_i8 v[72:75], a[54:55], v[150:151], v[72:75]// 00000000399C: D3D70048 0D232D36
	ds_read_b128 v[192:195], v2 offset:9344                    // 0000000039A4: D9FE2480 C0000002
	v_mfma_i32_16x16x32_i8 v[72:75], a[56:57], v[152:153], v[72:75]// 0000000039AC: D3D70048 0D233138
	v_mfma_i32_16x16x32_i8 v[72:75], a[58:59], v[154:155], v[72:75]// 0000000039B4: D3D70048 0D23353A
	buffer_load_dwordx4 a[20:23], v33, s[24:27], 0 offen offset:1024// 0000000039BC: E05C1400 80861421
	v_mfma_i32_16x16x32_i8 v[72:75], a[60:61], v[156:157], v[72:75]// 0000000039C4: D3D70048 0D23393C
	v_mfma_i32_16x16x32_i8 v[72:75], a[62:63], v[158:159], v[72:75]// 0000000039CC: D3D70048 0D233D3E
	ds_read_b128 v[196:199], v2 offset:9408                    // 0000000039D4: D9FE24C0 C4000002
	v_mfma_i32_16x16x32_i8 v[76:79], a[48:49], v[160:161], v[76:79]// 0000000039DC: D3D7004C 0D334130
	v_mfma_i32_16x16x32_i8 v[76:79], a[50:51], v[162:163], v[76:79]// 0000000039E4: D3D7004C 0D334532
	buffer_load_dwordx4 a[24:27], v33, s[24:27], 0 offen offset:2048// 0000000039EC: E05C1800 80861821
	v_mfma_i32_16x16x32_i8 v[76:79], a[52:53], v[164:165], v[76:79]// 0000000039F4: D3D7004C 0D334934
	v_mfma_i32_16x16x32_i8 v[76:79], a[54:55], v[166:167], v[76:79]// 0000000039FC: D3D7004C 0D334D36
	ds_read_b128 v[200:203], v2 offset:9472                    // 000000003A04: D9FE2500 C8000002
	v_mfma_i32_16x16x32_i8 v[76:79], a[56:57], v[168:169], v[76:79]// 000000003A0C: D3D7004C 0D335138
	v_mfma_i32_16x16x32_i8 v[76:79], a[58:59], v[170:171], v[76:79]// 000000003A14: D3D7004C 0D33553A
	buffer_load_dwordx4 a[28:31], v33, s[24:27], 0 offen offset:3072// 000000003A1C: E05C1C00 80861C21
	v_mfma_i32_16x16x32_i8 v[76:79], a[60:61], v[172:173], v[76:79]// 000000003A24: D3D7004C 0D33593C
	v_mfma_i32_16x16x32_i8 v[76:79], a[62:63], v[174:175], v[76:79]// 000000003A2C: D3D7004C 0D335D3E
	ds_read_b128 v[204:207], v2 offset:9536                    // 000000003A34: D9FE2540 CC000002
	s_add_u32 s60, 0x200, s80                                  // 000000003A3C: 803C50FF 00000200
	s_cmp_lt_u32 s60, s81                                      // 000000003A44: BF0A513C
	s_cselect_b32 s57, s57, 0                                  // 000000003A48: 85398039
	s_add_u32 s60, 0x200, s80                                  // 000000003A4C: 803C50FF 00000200
	s_cmp_lt_u32 s60, s81                                      // 000000003A54: BF0A513C
	s_cselect_b32 s58, s58, 0                                  // 000000003A58: 853A803A
	s_add_u32 s20, s57, s20                                    // 000000003A5C: 80141439
	s_addc_u32 s21, 0, s21                                     // 000000003A60: 82151580
	s_add_u32 s24, s58, s24                                    // 000000003A64: 8018183A
	s_addc_u32 s25, 0, s25                                     // 000000003A68: 82191980
	s_add_u32 s92, s90, s92                                    // 000000003A6C: 805C5C5A
	s_addc_u32 s93, 0, s93                                     // 000000003A70: 825D5D80
	s_addk_i32 s80, 0x100                                      // 000000003A74: B7500100
	s_cmp_lt_i32 s80, s81                                      // 000000003A78: BF045150
	s_cbranch_scc0 label_0405                                  // 000000003A7C: BF8400E5
	s_waitcnt vmcnt(0) lgkmcnt(0)                              // 000000003A80: BF8C0070
	s_barrier                                                  // 000000003A84: BF8A0000
	v_mfma_i32_16x16x32_i8 v[128:131], a[0:1], v[176:177], v[128:131]// 000000003A88: D3D70080 0E036100
	v_mfma_i32_16x16x32_i8 v[128:131], a[2:3], v[178:179], v[128:131]// 000000003A90: D3D70080 0E036502
	buffer_load_dwordx4 a[32:35], v32, s[92:95], 0 offen       // 000000003A98: E05C1000 80972020
	v_mfma_i32_16x16x32_i8 v[128:131], a[4:5], v[180:181], v[128:131]// 000000003AA0: D3D70080 0E036904
	v_mfma_i32_16x16x32_i8 v[128:131], a[6:7], v[182:183], v[128:131]// 000000003AA8: D3D70080 0E036D06
	buffer_load_dword v24, s[20:23], 0 offen lds               // 000000003AB0: E0511000 80050018
	s_add_u32 m0, 0x100, s50                                   // 000000003AB8: 807C32FF 00000100
	v_mfma_i32_16x16x32_i8 v[128:131], a[8:9], v[184:185], v[128:131]// 000000003AC0: D3D70080 0E037108
	v_mfma_i32_16x16x32_i8 v[128:131], a[10:11], v[186:187], v[128:131]// 000000003AC8: D3D70080 0E03750A
	buffer_load_dwordx4 a[36:39], v32, s[92:95], 0 offen offset:1024// 000000003AD0: E05C1400 80972420
	v_mfma_i32_16x16x32_i8 v[128:131], a[12:13], v[188:189], v[128:131]// 000000003AD8: D3D70080 0E03790C
	v_mfma_i32_16x16x32_i8 v[128:131], a[14:15], v[190:191], v[128:131]// 000000003AE0: D3D70080 0E037D0E
	buffer_load_dword v25, s[20:23], 0 offen lds               // 000000003AE8: E0511000 80050019
	s_add_u32 m0, 0x200, s50                                   // 000000003AF0: 807C32FF 00000200
	v_mfma_i32_16x16x32_i8 v[132:135], a[0:1], v[192:193], v[132:135]// 000000003AF8: D3D70084 0E138100
	v_mfma_i32_16x16x32_i8 v[132:135], a[2:3], v[194:195], v[132:135]// 000000003B00: D3D70084 0E138502
	buffer_load_dwordx4 a[40:43], v32, s[92:95], 0 offen offset:2048// 000000003B08: E05C1800 80972820
	v_mfma_i32_16x16x32_i8 v[132:135], a[4:5], v[196:197], v[132:135]// 000000003B10: D3D70084 0E138904
	v_mfma_i32_16x16x32_i8 v[132:135], a[6:7], v[198:199], v[132:135]// 000000003B18: D3D70084 0E138D06
	buffer_load_dword v26, s[20:23], 0 offen lds               // 000000003B20: E0511000 8005001A
	s_add_u32 m0, 0x300, s50                                   // 000000003B28: 807C32FF 00000300
	v_mfma_i32_16x16x32_i8 v[132:135], a[8:9], v[200:201], v[132:135]// 000000003B30: D3D70084 0E139108
	v_mfma_i32_16x16x32_i8 v[132:135], a[10:11], v[202:203], v[132:135]// 000000003B38: D3D70084 0E13950A
	buffer_load_dwordx4 a[44:47], v32, s[92:95], 0 offen offset:3072// 000000003B40: E05C1C00 80972C20
	v_mfma_i32_16x16x32_i8 v[132:135], a[12:13], v[204:205], v[132:135]// 000000003B48: D3D70084 0E13990C
	v_mfma_i32_16x16x32_i8 v[132:135], a[14:15], v[206:207], v[132:135]// 000000003B50: D3D70084 0E139D0E
	buffer_load_dword v27, s[20:23], 0 offen lds               // 000000003B58: E0511000 8005001B
	s_add_u32 m0, 0x400, s50                                   // 000000003B60: 807C32FF 00000400
	v_mfma_i32_16x16x32_i8 v[136:139], a[16:17], v[176:177], v[136:139]// 000000003B68: D3D70088 0E236110
	v_mfma_i32_16x16x32_i8 v[136:139], a[18:19], v[178:179], v[136:139]// 000000003B70: D3D70088 0E236512
	buffer_load_dwordx4 a[48:51], v33, s[92:95], 0 offen       // 000000003B78: E05C1000 80973021
	v_mfma_i32_16x16x32_i8 v[136:139], a[20:21], v[180:181], v[136:139]// 000000003B80: D3D70088 0E236914
	v_mfma_i32_16x16x32_i8 v[136:139], a[22:23], v[182:183], v[136:139]// 000000003B88: D3D70088 0E236D16
	buffer_load_dword v28, s[20:23], 0 offen lds               // 000000003B90: E0511000 8005001C
	s_add_u32 m0, 0x500, s50                                   // 000000003B98: 807C32FF 00000500
	v_mfma_i32_16x16x32_i8 v[136:139], a[24:25], v[184:185], v[136:139]// 000000003BA0: D3D70088 0E237118
	v_mfma_i32_16x16x32_i8 v[136:139], a[26:27], v[186:187], v[136:139]// 000000003BA8: D3D70088 0E23751A
	buffer_load_dwordx4 a[52:55], v33, s[92:95], 0 offen offset:1024// 000000003BB0: E05C1400 80973421
	v_mfma_i32_16x16x32_i8 v[136:139], a[28:29], v[188:189], v[136:139]// 000000003BB8: D3D70088 0E23791C
	v_mfma_i32_16x16x32_i8 v[136:139], a[30:31], v[190:191], v[136:139]// 000000003BC0: D3D70088 0E237D1E
	buffer_load_dword v29, s[20:23], 0 offen lds               // 000000003BC8: E0511000 8005001D
	s_add_u32 m0, 0x600, s50                                   // 000000003BD0: 807C32FF 00000600
	v_mfma_i32_16x16x32_i8 v[140:143], a[16:17], v[192:193], v[140:143]// 000000003BD8: D3D7008C 0E338110
	v_mfma_i32_16x16x32_i8 v[140:143], a[18:19], v[194:195], v[140:143]// 000000003BE0: D3D7008C 0E338512
	buffer_load_dwordx4 a[56:59], v33, s[92:95], 0 offen offset:2048// 000000003BE8: E05C1800 80973821
	v_mfma_i32_16x16x32_i8 v[140:143], a[20:21], v[196:197], v[140:143]// 000000003BF0: D3D7008C 0E338914
	v_mfma_i32_16x16x32_i8 v[140:143], a[22:23], v[198:199], v[140:143]// 000000003BF8: D3D7008C 0E338D16
	buffer_load_dword v30, s[20:23], 0 offen lds               // 000000003C00: E0511000 8005001E
	s_add_u32 m0, 0x700, s50                                   // 000000003C08: 807C32FF 00000700
	v_mfma_i32_16x16x32_i8 v[140:143], a[24:25], v[200:201], v[140:143]// 000000003C10: D3D7008C 0E339118
	v_mfma_i32_16x16x32_i8 v[140:143], a[26:27], v[202:203], v[140:143]// 000000003C18: D3D7008C 0E33951A
	buffer_load_dwordx4 a[60:63], v33, s[92:95], 0 offen offset:3072// 000000003C20: E05C1C00 80973C21
	v_mfma_i32_16x16x32_i8 v[140:143], a[28:29], v[204:205], v[140:143]// 000000003C28: D3D7008C 0E33991C
	v_mfma_i32_16x16x32_i8 v[140:143], a[30:31], v[206:207], v[140:143]// 000000003C30: D3D7008C 0E339D1E
	buffer_load_dword v31, s[20:23], 0 offen lds               // 000000003C38: E0511000 8005001F
	s_add_u32 m0, 0, s51                                       // 000000003C40: 807C3380
	s_waitcnt vmcnt(0)                                         // 000000003C44: BF8C0F70
	s_barrier                                                  // 000000003C48: BF8A0000
	v_mfma_i32_16x16x32_i8 v[64:67], a[32:33], v[176:177], v[64:67]// 000000003C4C: D3D70040 0D036120
	v_mfma_i32_16x16x32_i8 v[64:67], a[34:35], v[178:179], v[64:67]// 000000003C54: D3D70040 0D036522
	buffer_load_dwordx4 a[0:3], v32, s[24:27], 0 offen         // 000000003C5C: E05C1000 80860020
	v_mfma_i32_16x16x32_i8 v[64:67], a[36:37], v[180:181], v[64:67]// 000000003C64: D3D70040 0D036924
	v_mfma_i32_16x16x32_i8 v[64:67], a[38:39], v[182:183], v[64:67]// 000000003C6C: D3D70040 0D036D26
	ds_read_b128 v[144:147], v2                                // 000000003C74: D9FE0000 90000002
	v_mfma_i32_16x16x32_i8 v[64:67], a[40:41], v[184:185], v[64:67]// 000000003C7C: D3D70040 0D037128
	v_mfma_i32_16x16x32_i8 v[64:67], a[42:43], v[186:187], v[64:67]// 000000003C84: D3D70040 0D03752A
	buffer_load_dwordx4 a[4:7], v32, s[24:27], 0 offen offset:1024// 000000003C8C: E05C1400 80860420
	v_mfma_i32_16x16x32_i8 v[64:67], a[44:45], v[188:189], v[64:67]// 000000003C94: D3D70040 0D03792C
	v_mfma_i32_16x16x32_i8 v[64:67], a[46:47], v[190:191], v[64:67]// 000000003C9C: D3D70040 0D037D2E
	ds_read_b128 v[148:151], v2 offset:64                      // 000000003CA4: D9FE0040 94000002
	v_mfma_i32_16x16x32_i8 v[68:71], a[32:33], v[192:193], v[68:71]// 000000003CAC: D3D70044 0D138120
	v_mfma_i32_16x16x32_i8 v[68:71], a[34:35], v[194:195], v[68:71]// 000000003CB4: D3D70044 0D138522
	buffer_load_dwordx4 a[8:11], v32, s[24:27], 0 offen offset:2048// 000000003CBC: E05C1800 80860820
	v_mfma_i32_16x16x32_i8 v[68:71], a[36:37], v[196:197], v[68:71]// 000000003CC4: D3D70044 0D138924
	v_mfma_i32_16x16x32_i8 v[68:71], a[38:39], v[198:199], v[68:71]// 000000003CCC: D3D70044 0D138D26
	ds_read_b128 v[152:155], v2 offset:128                     // 000000003CD4: D9FE0080 98000002
	v_mfma_i32_16x16x32_i8 v[68:71], a[40:41], v[200:201], v[68:71]// 000000003CDC: D3D70044 0D139128
	v_mfma_i32_16x16x32_i8 v[68:71], a[42:43], v[202:203], v[68:71]// 000000003CE4: D3D70044 0D13952A
	buffer_load_dwordx4 a[12:15], v32, s[24:27], 0 offen offset:3072// 000000003CEC: E05C1C00 80860C20
	v_mfma_i32_16x16x32_i8 v[68:71], a[44:45], v[204:205], v[68:71]// 000000003CF4: D3D70044 0D13992C
	v_mfma_i32_16x16x32_i8 v[68:71], a[46:47], v[206:207], v[68:71]// 000000003CFC: D3D70044 0D139D2E
	ds_read_b128 v[156:159], v2 offset:192                     // 000000003D04: D9FE00C0 9C000002
	v_mfma_i32_16x16x32_i8 v[72:75], a[48:49], v[176:177], v[72:75]// 000000003D0C: D3D70048 0D236130
	v_mfma_i32_16x16x32_i8 v[72:75], a[50:51], v[178:179], v[72:75]// 000000003D14: D3D70048 0D236532
	buffer_load_dwordx4 a[16:19], v33, s[24:27], 0 offen       // 000000003D1C: E05C1000 80861021
	v_mfma_i32_16x16x32_i8 v[72:75], a[52:53], v[180:181], v[72:75]// 000000003D24: D3D70048 0D236934
	v_mfma_i32_16x16x32_i8 v[72:75], a[54:55], v[182:183], v[72:75]// 000000003D2C: D3D70048 0D236D36
	ds_read_b128 v[160:163], v2 offset:1024                    // 000000003D34: D9FE0400 A0000002
	v_mfma_i32_16x16x32_i8 v[72:75], a[56:57], v[184:185], v[72:75]// 000000003D3C: D3D70048 0D237138
	v_mfma_i32_16x16x32_i8 v[72:75], a[58:59], v[186:187], v[72:75]// 000000003D44: D3D70048 0D23753A
	buffer_load_dwordx4 a[20:23], v33, s[24:27], 0 offen offset:1024// 000000003D4C: E05C1400 80861421
	v_mfma_i32_16x16x32_i8 v[72:75], a[60:61], v[188:189], v[72:75]// 000000003D54: D3D70048 0D23793C
	v_mfma_i32_16x16x32_i8 v[72:75], a[62:63], v[190:191], v[72:75]// 000000003D5C: D3D70048 0D237D3E
	ds_read_b128 v[164:167], v2 offset:1088                    // 000000003D64: D9FE0440 A4000002
	v_mfma_i32_16x16x32_i8 v[76:79], a[48:49], v[192:193], v[76:79]// 000000003D6C: D3D7004C 0D338130
	v_mfma_i32_16x16x32_i8 v[76:79], a[50:51], v[194:195], v[76:79]// 000000003D74: D3D7004C 0D338532
	buffer_load_dwordx4 a[24:27], v33, s[24:27], 0 offen offset:2048// 000000003D7C: E05C1800 80861821
	v_mfma_i32_16x16x32_i8 v[76:79], a[52:53], v[196:197], v[76:79]// 000000003D84: D3D7004C 0D338934
	v_mfma_i32_16x16x32_i8 v[76:79], a[54:55], v[198:199], v[76:79]// 000000003D8C: D3D7004C 0D338D36
	ds_read_b128 v[168:171], v2 offset:1152                    // 000000003D94: D9FE0480 A8000002
	v_mfma_i32_16x16x32_i8 v[76:79], a[56:57], v[200:201], v[76:79]// 000000003D9C: D3D7004C 0D339138
	v_mfma_i32_16x16x32_i8 v[76:79], a[58:59], v[202:203], v[76:79]// 000000003DA4: D3D7004C 0D33953A
	buffer_load_dwordx4 a[28:31], v33, s[24:27], 0 offen offset:3072// 000000003DAC: E05C1C00 80861C21
	v_mfma_i32_16x16x32_i8 v[76:79], a[60:61], v[204:205], v[76:79]// 000000003DB4: D3D7004C 0D33993C
	v_mfma_i32_16x16x32_i8 v[76:79], a[62:63], v[206:207], v[76:79]// 000000003DBC: D3D7004C 0D339D3E
	ds_read_b128 v[172:175], v2 offset:1216                    // 000000003DC4: D9FE04C0 AC000002
	s_add_u32 s60, 0x200, s80                                  // 000000003DCC: 803C50FF 00000200
	s_cmp_lt_u32 s60, s81                                      // 000000003DD4: BF0A513C
	s_cselect_b32 s57, s57, 0                                  // 000000003DD8: 85398039
	s_add_u32 s60, 0x200, s80                                  // 000000003DDC: 803C50FF 00000200
	s_cmp_lt_u32 s60, s81                                      // 000000003DE4: BF0A513C
	s_cselect_b32 s58, s58, 0                                  // 000000003DE8: 853A803A
	s_add_u32 s20, s57, s20                                    // 000000003DEC: 80141439
	s_addc_u32 s21, 0, s21                                     // 000000003DF0: 82151580
	s_add_u32 s24, s58, s24                                    // 000000003DF4: 8018183A
	s_addc_u32 s25, 0, s25                                     // 000000003DF8: 82191980
	s_add_u32 s92, s90, s92                                    // 000000003DFC: 805C5C5A
	s_addc_u32 s93, 0, s93                                     // 000000003E00: 825D5D80
	s_addk_i32 s80, 0x100                                      // 000000003E04: B7500100
	s_cmp_lt_i32 s80, s81                                      // 000000003E08: BF045150
	s_cbranch_scc0 label_0405                                  // 000000003E0C: BF840001
	s_branch label_023C                                        // 000000003E10: BF82FE37

0000000000003e14 <label_0405>:
	s_mov_b32 s36, -1                                          // 000000003E14: BEA400C1
	s_mov_b32 s37, -1                                          // 000000003E18: BEA500C1
	s_mov_b64 s[60:61], 0                                      // 000000003E1C: BEBC0180
	s_cmp_lt_u32 s82, s66                                      // 000000003E20: BF0A4252
	s_cselect_b64 s[20:21], s[36:37], s[60:61]                 // 000000003E24: 85943C24
	s_cmp_lt_u32 s83, s66                                      // 000000003E28: BF0A4253
	s_cselect_b64 s[22:23], s[36:37], s[60:61]                 // 000000003E2C: 85963C24
	s_cmp_lt_u32 s84, s66                                      // 000000003E30: BF0A4254
	s_cselect_b64 s[24:25], s[36:37], s[60:61]                 // 000000003E34: 85983C24
	s_cmp_lt_u32 s85, s66                                      // 000000003E38: BF0A4255
	s_cselect_b64 s[26:27], s[36:37], s[60:61]                 // 000000003E3C: 859A3C24
	s_cmp_lt_u32 s86, s66                                      // 000000003E40: BF0A4256
	s_cselect_b64 s[28:29], s[36:37], s[60:61]                 // 000000003E44: 859C3C24
	s_cmp_lt_u32 s87, s66                                      // 000000003E48: BF0A4257
	s_cselect_b64 s[30:31], s[36:37], s[60:61]                 // 000000003E4C: 859E3C24
	s_cmp_lt_u32 s88, s66                                      // 000000003E50: BF0A4258
	s_cselect_b64 s[32:33], s[36:37], s[60:61]                 // 000000003E54: 85A03C24
	s_cmp_lt_u32 s89, s66                                      // 000000003E58: BF0A4259
	s_cselect_b64 s[34:35], s[36:37], s[60:61]                 // 000000003E5C: 85A23C24
	v_cvt_f32_i32_e32 v128, v128                               // 000000003E60: 7F000B80
	v_cvt_f32_i32_e32 v129, v129                               // 000000003E64: 7F020B81
	v_cvt_f32_i32_e32 v130, v130                               // 000000003E68: 7F040B82
	v_cvt_f32_i32_e32 v131, v131                               // 000000003E6C: 7F060B83
	v_mul_f32_e32 v128, v13, v128                              // 000000003E70: 0B01010D
	v_mul_f32_e32 v129, v13, v129                              // 000000003E74: 0B03030D
	v_mul_f32_e32 v130, v13, v130                              // 000000003E78: 0B05050D
	v_mul_f32_e32 v131, v13, v131                              // 000000003E7C: 0B07070D
	v_mul_f32_dpp v128, v15, v128 row_newbcast:0 row_mask:0xf bank_mask:0xf// 000000003E80: 0B0100FA FF01500F
	v_mul_f32_dpp v129, v15, v129 row_newbcast:1 row_mask:0xf bank_mask:0xf// 000000003E88: 0B0302FA FF01510F
	v_mul_f32_dpp v130, v15, v130 row_newbcast:2 row_mask:0xf bank_mask:0xf// 000000003E90: 0B0504FA FF01520F
	v_mul_f32_dpp v131, v15, v131 row_newbcast:3 row_mask:0xf bank_mask:0xf// 000000003E98: 0B0706FA FF01530F
	v_cvt_f32_i32_e32 v132, v132                               // 000000003EA0: 7F080B84
	v_cvt_f32_i32_e32 v133, v133                               // 000000003EA4: 7F0A0B85
	v_cvt_f32_i32_e32 v134, v134                               // 000000003EA8: 7F0C0B86
	v_cvt_f32_i32_e32 v135, v135                               // 000000003EAC: 7F0E0B87
	v_mul_f32_e32 v132, v14, v132                              // 000000003EB0: 0B09090E
	v_mul_f32_e32 v133, v14, v133                              // 000000003EB4: 0B0B0B0E
	v_mul_f32_e32 v134, v14, v134                              // 000000003EB8: 0B0D0D0E
	v_mul_f32_e32 v135, v14, v135                              // 000000003EBC: 0B0F0F0E
	v_mul_f32_dpp v132, v15, v132 row_newbcast:0 row_mask:0xf bank_mask:0xf// 000000003EC0: 0B0908FA FF01500F
	v_mul_f32_dpp v133, v15, v133 row_newbcast:1 row_mask:0xf bank_mask:0xf// 000000003EC8: 0B0B0AFA FF01510F
	v_mul_f32_dpp v134, v15, v134 row_newbcast:2 row_mask:0xf bank_mask:0xf// 000000003ED0: 0B0D0CFA FF01520F
	v_mul_f32_dpp v135, v15, v135 row_newbcast:3 row_mask:0xf bank_mask:0xf// 000000003ED8: 0B0F0EFA FF01530F
	v_cvt_f32_i32_e32 v136, v136                               // 000000003EE0: 7F100B88
	v_cvt_f32_i32_e32 v137, v137                               // 000000003EE4: 7F120B89
	v_cvt_f32_i32_e32 v138, v138                               // 000000003EE8: 7F140B8A
	v_cvt_f32_i32_e32 v139, v139                               // 000000003EEC: 7F160B8B
	v_mul_f32_e32 v136, v13, v136                              // 000000003EF0: 0B11110D
	v_mul_f32_e32 v137, v13, v137                              // 000000003EF4: 0B13130D
	v_mul_f32_e32 v138, v13, v138                              // 000000003EF8: 0B15150D
	v_mul_f32_e32 v139, v13, v139                              // 000000003EFC: 0B17170D
	v_mul_f32_dpp v136, v15, v136 row_newbcast:4 row_mask:0xf bank_mask:0xf// 000000003F00: 0B1110FA FF01540F
	v_mul_f32_dpp v137, v15, v137 row_newbcast:5 row_mask:0xf bank_mask:0xf// 000000003F08: 0B1312FA FF01550F
	v_mul_f32_dpp v138, v15, v138 row_newbcast:6 row_mask:0xf bank_mask:0xf// 000000003F10: 0B1514FA FF01560F
	v_mul_f32_dpp v139, v15, v139 row_newbcast:7 row_mask:0xf bank_mask:0xf// 000000003F18: 0B1716FA FF01570F
	v_cvt_f32_i32_e32 v140, v140                               // 000000003F20: 7F180B8C
	v_cvt_f32_i32_e32 v141, v141                               // 000000003F24: 7F1A0B8D
	v_cvt_f32_i32_e32 v142, v142                               // 000000003F28: 7F1C0B8E
	v_cvt_f32_i32_e32 v143, v143                               // 000000003F2C: 7F1E0B8F
	v_mul_f32_e32 v140, v14, v140                              // 000000003F30: 0B19190E
	v_mul_f32_e32 v141, v14, v141                              // 000000003F34: 0B1B1B0E
	v_mul_f32_e32 v142, v14, v142                              // 000000003F38: 0B1D1D0E
	v_mul_f32_e32 v143, v14, v143                              // 000000003F3C: 0B1F1F0E
	v_mul_f32_dpp v140, v15, v140 row_newbcast:4 row_mask:0xf bank_mask:0xf// 000000003F40: 0B1918FA FF01540F
	v_mul_f32_dpp v141, v15, v141 row_newbcast:5 row_mask:0xf bank_mask:0xf// 000000003F48: 0B1B1AFA FF01550F
	v_mul_f32_dpp v142, v15, v142 row_newbcast:6 row_mask:0xf bank_mask:0xf// 000000003F50: 0B1D1CFA FF01560F
	v_mul_f32_dpp v143, v15, v143 row_newbcast:7 row_mask:0xf bank_mask:0xf// 000000003F58: 0B1F1EFA FF01570F
	v_cvt_f32_i32_e32 v64, v64                                 // 000000003F60: 7E800B40
	v_cvt_f32_i32_e32 v65, v65                                 // 000000003F64: 7E820B41
	v_cvt_f32_i32_e32 v66, v66                                 // 000000003F68: 7E840B42
	v_cvt_f32_i32_e32 v67, v67                                 // 000000003F6C: 7E860B43
	v_mul_f32_e32 v64, v13, v64                                // 000000003F70: 0A80810D
	v_mul_f32_e32 v65, v13, v65                                // 000000003F74: 0A82830D
	v_mul_f32_e32 v66, v13, v66                                // 000000003F78: 0A84850D
	v_mul_f32_e32 v67, v13, v67                                // 000000003F7C: 0A86870D
	v_mul_f32_dpp v64, v42, v64 row_newbcast:0 row_mask:0xf bank_mask:0xf// 000000003F80: 0A8080FA FF01502A
	v_mul_f32_dpp v65, v42, v65 row_newbcast:1 row_mask:0xf bank_mask:0xf// 000000003F88: 0A8282FA FF01512A
	v_mul_f32_dpp v66, v42, v66 row_newbcast:2 row_mask:0xf bank_mask:0xf// 000000003F90: 0A8484FA FF01522A
	v_mul_f32_dpp v67, v42, v67 row_newbcast:3 row_mask:0xf bank_mask:0xf// 000000003F98: 0A8686FA FF01532A
	v_cvt_f32_i32_e32 v68, v68                                 // 000000003FA0: 7E880B44
	v_cvt_f32_i32_e32 v69, v69                                 // 000000003FA4: 7E8A0B45
	v_cvt_f32_i32_e32 v70, v70                                 // 000000003FA8: 7E8C0B46
	v_cvt_f32_i32_e32 v71, v71                                 // 000000003FAC: 7E8E0B47
	v_mul_f32_e32 v68, v14, v68                                // 000000003FB0: 0A88890E
	v_mul_f32_e32 v69, v14, v69                                // 000000003FB4: 0A8A8B0E
	v_mul_f32_e32 v70, v14, v70                                // 000000003FB8: 0A8C8D0E
	v_mul_f32_e32 v71, v14, v71                                // 000000003FBC: 0A8E8F0E
	v_mul_f32_dpp v68, v42, v68 row_newbcast:0 row_mask:0xf bank_mask:0xf// 000000003FC0: 0A8888FA FF01502A
	v_mul_f32_dpp v69, v42, v69 row_newbcast:1 row_mask:0xf bank_mask:0xf// 000000003FC8: 0A8A8AFA FF01512A
	v_mul_f32_dpp v70, v42, v70 row_newbcast:2 row_mask:0xf bank_mask:0xf// 000000003FD0: 0A8C8CFA FF01522A
	v_mul_f32_dpp v71, v42, v71 row_newbcast:3 row_mask:0xf bank_mask:0xf// 000000003FD8: 0A8E8EFA FF01532A
	v_cvt_f32_i32_e32 v72, v72                                 // 000000003FE0: 7E900B48
	v_cvt_f32_i32_e32 v73, v73                                 // 000000003FE4: 7E920B49
	v_cvt_f32_i32_e32 v74, v74                                 // 000000003FE8: 7E940B4A
	v_cvt_f32_i32_e32 v75, v75                                 // 000000003FEC: 7E960B4B
	v_mul_f32_e32 v72, v13, v72                                // 000000003FF0: 0A90910D
	v_mul_f32_e32 v73, v13, v73                                // 000000003FF4: 0A92930D
	v_mul_f32_e32 v74, v13, v74                                // 000000003FF8: 0A94950D
	v_mul_f32_e32 v75, v13, v75                                // 000000003FFC: 0A96970D
	v_mul_f32_dpp v72, v42, v72 row_newbcast:4 row_mask:0xf bank_mask:0xf// 000000004000: 0A9090FA FF01542A
	v_mul_f32_dpp v73, v42, v73 row_newbcast:5 row_mask:0xf bank_mask:0xf// 000000004008: 0A9292FA FF01552A
	v_mul_f32_dpp v74, v42, v74 row_newbcast:6 row_mask:0xf bank_mask:0xf// 000000004010: 0A9494FA FF01562A
	v_mul_f32_dpp v75, v42, v75 row_newbcast:7 row_mask:0xf bank_mask:0xf// 000000004018: 0A9696FA FF01572A
	v_cvt_f32_i32_e32 v76, v76                                 // 000000004020: 7E980B4C
	v_cvt_f32_i32_e32 v77, v77                                 // 000000004024: 7E9A0B4D
	v_cvt_f32_i32_e32 v78, v78                                 // 000000004028: 7E9C0B4E
	v_cvt_f32_i32_e32 v79, v79                                 // 00000000402C: 7E9E0B4F
	v_mul_f32_e32 v76, v14, v76                                // 000000004030: 0A98990E
	v_mul_f32_e32 v77, v14, v77                                // 000000004034: 0A9A9B0E
	v_mul_f32_e32 v78, v14, v78                                // 000000004038: 0A9C9D0E
	v_mul_f32_e32 v79, v14, v79                                // 00000000403C: 0A9E9F0E
	v_mul_f32_dpp v76, v42, v76 row_newbcast:4 row_mask:0xf bank_mask:0xf// 000000004040: 0A9898FA FF01542A
	v_mul_f32_dpp v77, v42, v77 row_newbcast:5 row_mask:0xf bank_mask:0xf// 000000004048: 0A9A9AFA FF01552A
	v_mul_f32_dpp v78, v42, v78 row_newbcast:6 row_mask:0xf bank_mask:0xf// 000000004050: 0A9C9CFA FF01562A
	v_mul_f32_dpp v79, v42, v79 row_newbcast:7 row_mask:0xf bank_mask:0xf// 000000004058: 0A9E9EFA FF01572A
	s_waitcnt vmcnt(4)                                         // 000000004060: BF8C0F74
	buffer_load_dwordx4 a[0:3], v34, s[12:15], 0 offen         // 000000004064: E05C1000 80830022
	v_mul_f32_e32 v44, v128, v128                              // 00000000406C: 0A590180
	v_mul_f32_e32 v45, v129, v129                              // 000000004070: 0A5B0381
	v_mul_f32_e32 v46, v130, v130                              // 000000004074: 0A5D0582
	v_mul_f32_e32 v47, v131, v131                              // 000000004078: 0A5F0783
	v_fma_f32 v44, v44, s77, v1                                // 00000000407C: D1CB002C 04049B2C
	v_fma_f32 v45, v45, s77, v1                                // 000000004084: D1CB002D 04049B2D
	v_fma_f32 v46, v46, s77, v1                                // 00000000408C: D1CB002E 04049B2E
	v_fma_f32 v47, v47, s77, v1                                // 000000004094: D1CB002F 04049B2F
	v_mul_f32_e32 v44, v44, v128                               // 00000000409C: 0A59012C
	v_mul_f32_e32 v45, v45, v129                               // 0000000040A0: 0A5B032D
	v_mul_f32_e32 v46, v46, v130                               // 0000000040A4: 0A5D052E
	v_mul_f32_e32 v47, v47, v131                               // 0000000040A8: 0A5F072F
	v_mul_f32_e64 v44, v44, s6                                 // 0000000040AC: D105002C 00000D2C
	v_mul_f32_e64 v45, v45, s6                                 // 0000000040B4: D105002D 00000D2D
	v_mul_f32_e64 v46, v46, s6                                 // 0000000040BC: D105002E 00000D2E
	v_mul_f32_e64 v47, v47, s6                                 // 0000000040C4: D105002F 00000D2F
	v_exp_f32_e32 v44, v44                                     // 0000000040CC: 7E58412C
	v_exp_f32_e32 v45, v45                                     // 0000000040D0: 7E5A412D
	v_exp_f32_e32 v46, v46                                     // 0000000040D4: 7E5C412E
	v_exp_f32_e32 v47, v47                                     // 0000000040D8: 7E5E412F
	buffer_load_dwordx4 a[4:7], v35, s[12:15], 0 offen         // 0000000040DC: E05C1000 80830423
	v_add_f32_e64 v44, v44, 1.0                                // 0000000040E4: D101002C 0001E52C
	v_add_f32_e64 v45, v45, 1.0                                // 0000000040EC: D101002D 0001E52D
	v_add_f32_e64 v46, v46, 1.0                                // 0000000040F4: D101002E 0001E52E
	v_add_f32_e64 v47, v47, 1.0                                // 0000000040FC: D101002F 0001E52F
	v_rcp_f32_e32 v44, v44                                     // 000000004104: 7E58452C
	v_rcp_f32_e32 v45, v45                                     // 000000004108: 7E5A452D
	v_rcp_f32_e32 v46, v46                                     // 00000000410C: 7E5C452E
	v_rcp_f32_e32 v47, v47                                     // 000000004110: 7E5E452F
	v_mul_f32_e32 v128, v128, v44                              // 000000004114: 0B005980
	v_mul_f32_e32 v129, v129, v45                              // 000000004118: 0B025B81
	v_mul_f32_e32 v130, v130, v46                              // 00000000411C: 0B045D82
	v_mul_f32_e32 v131, v131, v47                              // 000000004120: 0B065F83
	v_mul_f32_e32 v128, v128, v64                              // 000000004124: 0B008180
	v_mul_f32_e32 v129, v129, v65                              // 000000004128: 0B028381
	v_mul_f32_e32 v130, v130, v66                              // 00000000412C: 0B048582
	v_mul_f32_e32 v131, v131, v67                              // 000000004130: 0B068783
	buffer_load_dwordx4 a[8:11], v36, s[12:15], 0 offen        // 000000004134: E05C1000 80830824
	v_mul_f32_e32 v44, v132, v132                              // 00000000413C: 0A590984
	v_mul_f32_e32 v45, v133, v133                              // 000000004140: 0A5B0B85
	v_mul_f32_e32 v46, v134, v134                              // 000000004144: 0A5D0D86
	v_mul_f32_e32 v47, v135, v135                              // 000000004148: 0A5F0F87
	v_fma_f32 v44, v44, s77, v1                                // 00000000414C: D1CB002C 04049B2C
	v_fma_f32 v45, v45, s77, v1                                // 000000004154: D1CB002D 04049B2D
	v_fma_f32 v46, v46, s77, v1                                // 00000000415C: D1CB002E 04049B2E
	v_fma_f32 v47, v47, s77, v1                                // 000000004164: D1CB002F 04049B2F
	v_mul_f32_e32 v44, v44, v132                               // 00000000416C: 0A59092C
	v_mul_f32_e32 v45, v45, v133                               // 000000004170: 0A5B0B2D
	v_mul_f32_e32 v46, v46, v134                               // 000000004174: 0A5D0D2E
	v_mul_f32_e32 v47, v47, v135                               // 000000004178: 0A5F0F2F
	v_mul_f32_e64 v44, v44, s6                                 // 00000000417C: D105002C 00000D2C
	v_mul_f32_e64 v45, v45, s6                                 // 000000004184: D105002D 00000D2D
	v_mul_f32_e64 v46, v46, s6                                 // 00000000418C: D105002E 00000D2E
	v_mul_f32_e64 v47, v47, s6                                 // 000000004194: D105002F 00000D2F
	v_exp_f32_e32 v44, v44                                     // 00000000419C: 7E58412C
	v_exp_f32_e32 v45, v45                                     // 0000000041A0: 7E5A412D
	v_exp_f32_e32 v46, v46                                     // 0000000041A4: 7E5C412E
	v_exp_f32_e32 v47, v47                                     // 0000000041A8: 7E5E412F
	buffer_load_dwordx4 a[12:15], v37, s[12:15], 0 offen       // 0000000041AC: E05C1000 80830C25
	s_add_u32 s12, s78, s12                                    // 0000000041B4: 800C0C4E
	s_addc_u32 s13, 0, s13                                     // 0000000041B8: 820D0D80
	v_add_f32_e64 v44, v44, 1.0                                // 0000000041BC: D101002C 0001E52C
	v_add_f32_e64 v45, v45, 1.0                                // 0000000041C4: D101002D 0001E52D
	v_add_f32_e64 v46, v46, 1.0                                // 0000000041CC: D101002E 0001E52E
	v_add_f32_e64 v47, v47, 1.0                                // 0000000041D4: D101002F 0001E52F
	v_rcp_f32_e32 v44, v44                                     // 0000000041DC: 7E58452C
	v_rcp_f32_e32 v45, v45                                     // 0000000041E0: 7E5A452D
	v_rcp_f32_e32 v46, v46                                     // 0000000041E4: 7E5C452E
	v_rcp_f32_e32 v47, v47                                     // 0000000041E8: 7E5E452F
	v_mul_f32_e32 v132, v132, v44                              // 0000000041EC: 0B085984
	v_mul_f32_e32 v133, v133, v45                              // 0000000041F0: 0B0A5B85
	v_mul_f32_e32 v134, v134, v46                              // 0000000041F4: 0B0C5D86
	v_mul_f32_e32 v135, v135, v47                              // 0000000041F8: 0B0E5F87
	v_mul_f32_e32 v132, v132, v68                              // 0000000041FC: 0B088984
	v_mul_f32_e32 v133, v133, v69                              // 000000004200: 0B0A8B85
	v_mul_f32_e32 v134, v134, v70                              // 000000004204: 0B0C8D86
	v_mul_f32_e32 v135, v135, v71                              // 000000004208: 0B0E8F87
	s_waitcnt vmcnt(4)                                         // 00000000420C: BF8C0F74
	buffer_load_dwordx4 a[16:19], v34, s[12:15], 0 offen       // 000000004210: E05C1000 80831022
	v_mul_f32_e32 v44, v136, v136                              // 000000004218: 0A591188
	v_mul_f32_e32 v45, v137, v137                              // 00000000421C: 0A5B1389
	v_mul_f32_e32 v46, v138, v138                              // 000000004220: 0A5D158A
	v_mul_f32_e32 v47, v139, v139                              // 000000004224: 0A5F178B
	v_fma_f32 v44, v44, s77, v1                                // 000000004228: D1CB002C 04049B2C
	v_fma_f32 v45, v45, s77, v1                                // 000000004230: D1CB002D 04049B2D
	v_fma_f32 v46, v46, s77, v1                                // 000000004238: D1CB002E 04049B2E
	v_fma_f32 v47, v47, s77, v1                                // 000000004240: D1CB002F 04049B2F
	v_mul_f32_e32 v44, v44, v136                               // 000000004248: 0A59112C
	v_mul_f32_e32 v45, v45, v137                               // 00000000424C: 0A5B132D
	v_mul_f32_e32 v46, v46, v138                               // 000000004250: 0A5D152E
	v_mul_f32_e32 v47, v47, v139                               // 000000004254: 0A5F172F
	v_mul_f32_e64 v44, v44, s6                                 // 000000004258: D105002C 00000D2C
	v_mul_f32_e64 v45, v45, s6                                 // 000000004260: D105002D 00000D2D
	v_mul_f32_e64 v46, v46, s6                                 // 000000004268: D105002E 00000D2E
	v_mul_f32_e64 v47, v47, s6                                 // 000000004270: D105002F 00000D2F
	v_exp_f32_e32 v44, v44                                     // 000000004278: 7E58412C
	v_exp_f32_e32 v45, v45                                     // 00000000427C: 7E5A412D
	v_exp_f32_e32 v46, v46                                     // 000000004280: 7E5C412E
	v_exp_f32_e32 v47, v47                                     // 000000004284: 7E5E412F
	buffer_load_dwordx4 a[20:23], v35, s[12:15], 0 offen       // 000000004288: E05C1000 80831423
	v_add_f32_e64 v44, v44, 1.0                                // 000000004290: D101002C 0001E52C
	v_add_f32_e64 v45, v45, 1.0                                // 000000004298: D101002D 0001E52D
	v_add_f32_e64 v46, v46, 1.0                                // 0000000042A0: D101002E 0001E52E
	v_add_f32_e64 v47, v47, 1.0                                // 0000000042A8: D101002F 0001E52F
	v_rcp_f32_e32 v44, v44                                     // 0000000042B0: 7E58452C
	v_rcp_f32_e32 v45, v45                                     // 0000000042B4: 7E5A452D
	v_rcp_f32_e32 v46, v46                                     // 0000000042B8: 7E5C452E
	v_rcp_f32_e32 v47, v47                                     // 0000000042BC: 7E5E452F
	v_mul_f32_e32 v136, v136, v44                              // 0000000042C0: 0B105988
	v_mul_f32_e32 v137, v137, v45                              // 0000000042C4: 0B125B89
	v_mul_f32_e32 v138, v138, v46                              // 0000000042C8: 0B145D8A
	v_mul_f32_e32 v139, v139, v47                              // 0000000042CC: 0B165F8B
	v_mul_f32_e32 v136, v136, v72                              // 0000000042D0: 0B109188
	v_mul_f32_e32 v137, v137, v73                              // 0000000042D4: 0B129389
	v_mul_f32_e32 v138, v138, v74                              // 0000000042D8: 0B14958A
	v_mul_f32_e32 v139, v139, v75                              // 0000000042DC: 0B16978B
	buffer_load_dwordx4 a[24:27], v36, s[12:15], 0 offen       // 0000000042E0: E05C1000 80831824
	v_mul_f32_e32 v44, v140, v140                              // 0000000042E8: 0A59198C
	v_mul_f32_e32 v45, v141, v141                              // 0000000042EC: 0A5B1B8D
	v_mul_f32_e32 v46, v142, v142                              // 0000000042F0: 0A5D1D8E
	v_mul_f32_e32 v47, v143, v143                              // 0000000042F4: 0A5F1F8F
	v_fma_f32 v44, v44, s77, v1                                // 0000000042F8: D1CB002C 04049B2C
	v_fma_f32 v45, v45, s77, v1                                // 000000004300: D1CB002D 04049B2D
	v_fma_f32 v46, v46, s77, v1                                // 000000004308: D1CB002E 04049B2E
	v_fma_f32 v47, v47, s77, v1                                // 000000004310: D1CB002F 04049B2F
	v_mul_f32_e32 v44, v44, v140                               // 000000004318: 0A59192C
	v_mul_f32_e32 v45, v45, v141                               // 00000000431C: 0A5B1B2D
	v_mul_f32_e32 v46, v46, v142                               // 000000004320: 0A5D1D2E
	v_mul_f32_e32 v47, v47, v143                               // 000000004324: 0A5F1F2F
	v_mul_f32_e64 v44, v44, s6                                 // 000000004328: D105002C 00000D2C
	v_mul_f32_e64 v45, v45, s6                                 // 000000004330: D105002D 00000D2D
	v_mul_f32_e64 v46, v46, s6                                 // 000000004338: D105002E 00000D2E
	v_mul_f32_e64 v47, v47, s6                                 // 000000004340: D105002F 00000D2F
	v_exp_f32_e32 v44, v44                                     // 000000004348: 7E58412C
	v_exp_f32_e32 v45, v45                                     // 00000000434C: 7E5A412D
	v_exp_f32_e32 v46, v46                                     // 000000004350: 7E5C412E
	v_exp_f32_e32 v47, v47                                     // 000000004354: 7E5E412F
	buffer_load_dwordx4 a[28:31], v37, s[12:15], 0 offen       // 000000004358: E05C1000 80831C25
	v_add_f32_e64 v44, v44, 1.0                                // 000000004360: D101002C 0001E52C
	v_add_f32_e64 v45, v45, 1.0                                // 000000004368: D101002D 0001E52D
	v_add_f32_e64 v46, v46, 1.0                                // 000000004370: D101002E 0001E52E
	v_add_f32_e64 v47, v47, 1.0                                // 000000004378: D101002F 0001E52F
	v_rcp_f32_e32 v44, v44                                     // 000000004380: 7E58452C
	v_rcp_f32_e32 v45, v45                                     // 000000004384: 7E5A452D
	v_rcp_f32_e32 v46, v46                                     // 000000004388: 7E5C452E
	v_rcp_f32_e32 v47, v47                                     // 00000000438C: 7E5E452F
	v_mul_f32_e32 v140, v140, v44                              // 000000004390: 0B18598C
	v_mul_f32_e32 v141, v141, v45                              // 000000004394: 0B1A5B8D
	v_mul_f32_e32 v142, v142, v46                              // 000000004398: 0B1C5D8E
	v_mul_f32_e32 v143, v143, v47                              // 00000000439C: 0B1E5F8F
	v_mul_f32_e32 v140, v140, v76                              // 0000000043A0: 0B18998C
	v_mul_f32_e32 v141, v141, v77                              // 0000000043A4: 0B1A9B8D
	v_mul_f32_e32 v142, v142, v78                              // 0000000043A8: 0B1C9D8E
	v_mul_f32_e32 v143, v143, v79                              // 0000000043AC: 0B1E9F8F
	v_mul_f32_dpp v128, v16, v128 row_newbcast:0 row_mask:0xf bank_mask:0xf// 0000000043B0: 0B0100FA FF015010
	v_mul_f32_dpp v129, v16, v129 row_newbcast:1 row_mask:0xf bank_mask:0xf// 0000000043B8: 0B0302FA FF015110
	v_mul_f32_dpp v130, v16, v130 row_newbcast:2 row_mask:0xf bank_mask:0xf// 0000000043C0: 0B0504FA FF015210
	v_mul_f32_dpp v131, v16, v131 row_newbcast:3 row_mask:0xf bank_mask:0xf// 0000000043C8: 0B0706FA FF015310
	v_mul_f32_dpp v132, v16, v132 row_newbcast:0 row_mask:0xf bank_mask:0xf// 0000000043D0: 0B0908FA FF015010
	v_mul_f32_dpp v133, v16, v133 row_newbcast:1 row_mask:0xf bank_mask:0xf// 0000000043D8: 0B0B0AFA FF015110
	v_mul_f32_dpp v134, v16, v134 row_newbcast:2 row_mask:0xf bank_mask:0xf// 0000000043E0: 0B0D0CFA FF015210
	v_mul_f32_dpp v135, v16, v135 row_newbcast:3 row_mask:0xf bank_mask:0xf// 0000000043E8: 0B0F0EFA FF015310
	v_mul_f32_dpp v136, v16, v136 row_newbcast:4 row_mask:0xf bank_mask:0xf// 0000000043F0: 0B1110FA FF015410
	v_mul_f32_dpp v137, v16, v137 row_newbcast:5 row_mask:0xf bank_mask:0xf// 0000000043F8: 0B1312FA FF015510
	v_mul_f32_dpp v138, v16, v138 row_newbcast:6 row_mask:0xf bank_mask:0xf// 000000004400: 0B1514FA FF015610
	v_mul_f32_dpp v139, v16, v139 row_newbcast:7 row_mask:0xf bank_mask:0xf// 000000004408: 0B1716FA FF015710
	v_mul_f32_dpp v140, v16, v140 row_newbcast:4 row_mask:0xf bank_mask:0xf// 000000004410: 0B1918FA FF015410
	v_mul_f32_dpp v141, v16, v141 row_newbcast:5 row_mask:0xf bank_mask:0xf// 000000004418: 0B1B1AFA FF015510
	v_mul_f32_dpp v142, v16, v142 row_newbcast:6 row_mask:0xf bank_mask:0xf// 000000004420: 0B1D1CFA FF015610
	v_mul_f32_dpp v143, v16, v143 row_newbcast:7 row_mask:0xf bank_mask:0xf// 000000004428: 0B1F1EFA FF015710
	v_lshlrev_b32_e32 v44, 2, v0                               // 000000004430: 24580082
	s_mul_i32 s60, s82, s71                                    // 000000004434: 923C4752
	v_add_u32_e64 v80, v44, s60                                // 000000004438: D1340050 0000792C
	v_mov_b32_e32 v81, 0                                       // 000000004440: 7EA20280
	s_mul_i32 s60, s83, s71                                    // 000000004444: 923C4753
	v_add_u32_e64 v82, v44, s60                                // 000000004448: D1340052 0000792C
	v_mov_b32_e32 v83, 0                                       // 000000004450: 7EA60280
	s_mul_i32 s60, s84, s71                                    // 000000004454: 923C4754
	v_add_u32_e64 v84, v44, s60                                // 000000004458: D1340054 0000792C
	v_mov_b32_e32 v85, 0                                       // 000000004460: 7EAA0280
	s_mul_i32 s60, s85, s71                                    // 000000004464: 923C4755
	v_add_u32_e64 v86, v44, s60                                // 000000004468: D1340056 0000792C
	v_mov_b32_e32 v87, 0                                       // 000000004470: 7EAE0280
	s_mul_i32 s60, s86, s71                                    // 000000004474: 923C4756
	v_add_u32_e64 v88, v44, s60                                // 000000004478: D1340058 0000792C
	v_mov_b32_e32 v89, 0                                       // 000000004480: 7EB20280
	s_mul_i32 s60, s87, s71                                    // 000000004484: 923C4757
	v_add_u32_e64 v90, v44, s60                                // 000000004488: D134005A 0000792C
	v_mov_b32_e32 v91, 0                                       // 000000004490: 7EB60280
	s_mul_i32 s60, s88, s71                                    // 000000004494: 923C4758
	v_add_u32_e64 v92, v44, s60                                // 000000004498: D134005C 0000792C
	v_mov_b32_e32 v93, 0                                       // 0000000044A0: 7EBA0280
	s_mul_i32 s60, s89, s71                                    // 0000000044A4: 923C4759
	v_add_u32_e64 v94, v44, s60                                // 0000000044A8: D134005E 0000792C
	v_mov_b32_e32 v95, 0                                       // 0000000044B0: 7EBE0280
	buffer_load_dword v11, v5, s[16:19], 0 offen               // 0000000044B4: E0501000 80040B05
	v_mov_b32_e32 v20, 0x358637bd                              // 0000000044BC: 7E2802FF 358637BD
	v_mov_b32_e32 v21, 0x358637bd                              // 0000000044C4: 7E2A02FF 358637BD
	v_max3_f32 v20, |v128|, |v129|, v20                        // 0000000044CC: D1D30314 04530380
	v_max3_f32 v20, |v130|, |v131|, v20                        // 0000000044D4: D1D30314 04530782
	v_max3_f32 v21, |v132|, |v133|, v21                        // 0000000044DC: D1D30315 04570B84
	v_max3_f32 v21, |v134|, |v135|, v21                        // 0000000044E4: D1D30315 04570F86
	v_max3_f32 v20, |v136|, |v137|, v20                        // 0000000044EC: D1D30314 04531388
	v_max3_f32 v20, |v138|, |v139|, v20                        // 0000000044F4: D1D30314 0453178A
	v_max3_f32 v21, |v140|, |v141|, v21                        // 0000000044FC: D1D30315 04571B8C
	v_max3_f32 v21, |v142|, |v143|, v21                        // 000000004504: D1D30315 04571F8E
	v_lshlrev_b32_e32 v44, 3, v0                               // 00000000450C: 24580083
	s_mul_i32 s60, 0x200, s7                                   // 000000004510: 923C07FF 00000200
	v_add_u32_e32 v44, s60, v44                                // 000000004518: 6858583C
	ds_write_b64 v44, v[20:21] offset:16640                    // 00000000451C: D89A4100 0000142C
	s_waitcnt lgkmcnt(0)                                       // 000000004524: BF8CC07F
	s_barrier                                                  // 000000004528: BF8A0000
	v_and_b32_e32 v44, 15, v0                                  // 00000000452C: 2658008F
	v_lshlrev_b32_e32 v44, 3, v44                              // 000000004530: 24585883
	ds_read_b64 v[96:97], v44 offset:16640                     // 000000004534: D8EC4100 6000002C
	ds_read_b64 v[98:99], v44 offset:16768                     // 00000000453C: D8EC4180 6200002C
	ds_read_b64 v[100:101], v44 offset:16896                   // 000000004544: D8EC4200 6400002C
	ds_read_b64 v[102:103], v44 offset:17024                   // 00000000454C: D8EC4280 6600002C
	ds_read_b64 v[104:105], v44 offset:17152                   // 000000004554: D8EC4300 6800002C
	ds_read_b64 v[106:107], v44 offset:17280                   // 00000000455C: D8EC4380 6A00002C
	ds_read_b64 v[108:109], v44 offset:17408                   // 000000004564: D8EC4400 6C00002C
	ds_read_b64 v[110:111], v44 offset:17536                   // 00000000456C: D8EC4480 6E00002C
	ds_read_b64 v[112:113], v44 offset:17664                   // 000000004574: D8EC4500 7000002C
	ds_read_b64 v[114:115], v44 offset:17792                   // 00000000457C: D8EC4580 7200002C
	ds_read_b64 v[116:117], v44 offset:17920                   // 000000004584: D8EC4600 7400002C
	ds_read_b64 v[118:119], v44 offset:18048                   // 00000000458C: D8EC4680 7600002C
	ds_read_b64 v[120:121], v44 offset:18176                   // 000000004594: D8EC4700 7800002C
	ds_read_b64 v[122:123], v44 offset:18304                   // 00000000459C: D8EC4780 7A00002C
	ds_read_b64 v[124:125], v44 offset:18432                   // 0000000045A4: D8EC4800 7C00002C
	ds_read_b64 v[126:127], v44 offset:18560                   // 0000000045AC: D8EC4880 7E00002C
	s_waitcnt lgkmcnt(0)                                       // 0000000045B4: BF8CC07F
	v_max3_f32 v20, |v96|, |v98|, v20                          // 0000000045B8: D1D30314 0452C560
	v_max3_f32 v21, |v97|, |v99|, v21                          // 0000000045C0: D1D30315 0456C761
	v_max3_f32 v20, |v100|, |v102|, v20                        // 0000000045C8: D1D30314 0452CD64
	v_max3_f32 v21, |v101|, |v103|, v21                        // 0000000045D0: D1D30315 0456CF65
	v_max3_f32 v20, |v104|, |v106|, v20                        // 0000000045D8: D1D30314 0452D568
	v_max3_f32 v21, |v105|, |v107|, v21                        // 0000000045E0: D1D30315 0456D769
	v_max3_f32 v20, |v108|, |v110|, v20                        // 0000000045E8: D1D30314 0452DD6C
	v_max3_f32 v21, |v109|, |v111|, v21                        // 0000000045F0: D1D30315 0456DF6D
	v_max3_f32 v20, |v112|, |v114|, v20                        // 0000000045F8: D1D30314 0452E570
	v_max3_f32 v21, |v113|, |v115|, v21                        // 000000004600: D1D30315 0456E771
	v_max3_f32 v20, |v116|, |v118|, v20                        // 000000004608: D1D30314 0452ED74
	v_max3_f32 v21, |v117|, |v119|, v21                        // 000000004610: D1D30315 0456EF75
	v_max3_f32 v20, |v120|, |v122|, v20                        // 000000004618: D1D30314 0452F578
	v_max3_f32 v21, |v121|, |v123|, v21                        // 000000004620: D1D30315 0456F779
	v_max3_f32 v20, |v124|, |v126|, v20                        // 000000004628: D1D30314 0452FD7C
	v_max3_f32 v21, |v125|, |v127|, v21                        // 000000004630: D1D30315 0456FF7D
	v_rcp_f32_e32 v20, v20                                     // 000000004638: 7E284514
	v_rcp_f32_e32 v21, v21                                     // 00000000463C: 7E2A4515
	v_mul_f32_e32 v20, 0x42fe0000, v20                         // 000000004640: 0A2828FF 42FE0000
	v_mul_f32_e32 v21, 0x42fe0000, v21                         // 000000004648: 0A2A2AFF 42FE0000
	v_mul_f32_e32 v128, v20, v128                              // 000000004650: 0B010114
	v_mul_f32_e32 v129, v20, v129                              // 000000004654: 0B030314
	v_mul_f32_e32 v130, v20, v130                              // 000000004658: 0B050514
	v_mul_f32_e32 v131, v20, v131                              // 00000000465C: 0B070714
	v_cvt_i32_f32_e32 v128, v128                               // 000000004660: 7F001180
	v_cvt_i32_f32_e32 v129, v129                               // 000000004664: 7F021181
	v_cvt_i32_f32_e32 v130, v130                               // 000000004668: 7F041182
	v_cvt_i32_f32_e32 v131, v131                               // 00000000466C: 7F061183
	v_perm_b32 v128, v129, v128, s53                           // 000000004670: D1ED0080 00D70181
	v_perm_b32 v128, v130, v128, s54                           // 000000004678: D1ED0080 00DB0182
	v_perm_b32 v128, v131, v128, s55                           // 000000004680: D1ED0080 00DF0183
	v_mul_f32_e32 v132, v21, v132                              // 000000004688: 0B090915
	v_mul_f32_e32 v133, v21, v133                              // 00000000468C: 0B0B0B15
	v_mul_f32_e32 v134, v21, v134                              // 000000004690: 0B0D0D15
	v_mul_f32_e32 v135, v21, v135                              // 000000004694: 0B0F0F15
	v_cvt_i32_f32_e32 v132, v132                               // 000000004698: 7F081184
	v_cvt_i32_f32_e32 v133, v133                               // 00000000469C: 7F0A1185
	v_cvt_i32_f32_e32 v134, v134                               // 0000000046A0: 7F0C1186
	v_cvt_i32_f32_e32 v135, v135                               // 0000000046A4: 7F0E1187
	v_perm_b32 v129, v133, v132, s53                           // 0000000046A8: D1ED0081 00D70985
	v_perm_b32 v129, v134, v129, s54                           // 0000000046B0: D1ED0081 00DB0386
	v_perm_b32 v129, v135, v129, s55                           // 0000000046B8: D1ED0081 00DF0387
	v_mul_f32_e32 v136, v20, v136                              // 0000000046C0: 0B111114
	v_mul_f32_e32 v137, v20, v137                              // 0000000046C4: 0B131314
	v_mul_f32_e32 v138, v20, v138                              // 0000000046C8: 0B151514
	v_mul_f32_e32 v139, v20, v139                              // 0000000046CC: 0B171714
	v_cvt_i32_f32_e32 v136, v136                               // 0000000046D0: 7F101188
	v_cvt_i32_f32_e32 v137, v137                               // 0000000046D4: 7F121189
	v_cvt_i32_f32_e32 v138, v138                               // 0000000046D8: 7F14118A
	v_cvt_i32_f32_e32 v139, v139                               // 0000000046DC: 7F16118B
	v_perm_b32 v130, v137, v136, s53                           // 0000000046E0: D1ED0082 00D71189
	v_perm_b32 v130, v138, v130, s54                           // 0000000046E8: D1ED0082 00DB058A
	v_perm_b32 v130, v139, v130, s55                           // 0000000046F0: D1ED0082 00DF058B
	v_mul_f32_e32 v140, v21, v140                              // 0000000046F8: 0B191915
	v_mul_f32_e32 v141, v21, v141                              // 0000000046FC: 0B1B1B15
	v_mul_f32_e32 v142, v21, v142                              // 000000004700: 0B1D1D15
	v_mul_f32_e32 v143, v21, v143                              // 000000004704: 0B1F1F15
	v_cvt_i32_f32_e32 v140, v140                               // 000000004708: 7F18118C
	v_cvt_i32_f32_e32 v141, v141                               // 00000000470C: 7F1A118D
	v_cvt_i32_f32_e32 v142, v142                               // 000000004710: 7F1C118E
	v_cvt_i32_f32_e32 v143, v143                               // 000000004714: 7F1E118F
	v_perm_b32 v131, v141, v140, s53                           // 000000004718: D1ED0083 00D7198D
	v_perm_b32 v131, v142, v131, s54                           // 000000004720: D1ED0083 00DB078E
	v_perm_b32 v131, v143, v131, s55                           // 000000004728: D1ED0083 00DF078F
	v_rcp_f32_e32 v22, v20                                     // 000000004730: 7E2C4514
	v_rcp_f32_e32 v23, v21                                     // 000000004734: 7E2E4515
	v_lshrrev_b32_e32 v44, 5, v0                               // 000000004738: 20580085
	v_lshlrev_b32_e32 v45, 5, v44                              // 00000000473C: 245A5885
	v_and_b32_e32 v44, 31, v0                                  // 000000004740: 2658009F
	v_lshrrev_b32_e32 v46, 4, v44                              // 000000004744: 205C5884
	v_add_u32_e32 v45, v46, v45                                // 000000004748: 685A5B2E
	v_and_b32_e32 v44, 15, v0                                  // 00000000474C: 2658008F
	v_lshlrev_b32_e32 v44, 1, v44                              // 000000004750: 24585881
	v_add_u32_e32 v45, v44, v45                                // 000000004754: 685A5B2C
	v_lshlrev_b32_e32 v44, 2, v45                              // 000000004758: 24585A82
	s_mul_i32 s60, 0x100, s7                                   // 00000000475C: 923C07FF 00000100
	v_add_u32_e64 v44, v44, s60                                // 000000004764: D134002C 0000792C
	ds_write_b32 v44, v128 offset:18688                        // 00000000476C: D81A4900 0000802C
	ds_write_b32 v44, v129 offset:20736                        // 000000004774: D81A5100 0000812C
	ds_write_b32 v44, v130 offset:19712                        // 00000000477C: D81A4D00 0000822C
	ds_write_b32 v44, v131 offset:21760                        // 000000004784: D81A5500 0000832C
	s_waitcnt lgkmcnt(0)                                       // 00000000478C: BF8CC07F
	s_barrier                                                  // 000000004790: BF8A0000
	v_lshrrev_b32_e32 v44, 4, v0                               // 000000004794: 20580084
	v_lshlrev_b32_e32 v45, 6, v44                              // 000000004798: 245A5886
	v_and_b32_e32 v44, 15, v0                                  // 00000000479C: 2658008F
	v_lshlrev_b32_e32 v44, 1, v44                              // 0000000047A0: 24585881
	v_add_u32_e32 v45, v44, v45                                // 0000000047A4: 685A5B2C
	v_lshlrev_b32_e32 v44, 2, v45                              // 0000000047A8: 24585A82
	ds_read_b64 v[128:129], v44 offset:18688                   // 0000000047AC: D8EC4900 8000002C
	ds_read_b64 v[130:131], v44 offset:18816                   // 0000000047B4: D8EC4980 8200002C
	ds_read_b64 v[132:133], v44 offset:19712                   // 0000000047BC: D8EC4D00 8400002C
	ds_read_b64 v[134:135], v44 offset:19840                   // 0000000047C4: D8EC4D80 8600002C
	ds_read_b64 v[136:137], v44 offset:20736                   // 0000000047CC: D8EC5100 8800002C
	ds_read_b64 v[138:139], v44 offset:20864                   // 0000000047D4: D8EC5180 8A00002C
	ds_read_b64 v[140:141], v44 offset:21760                   // 0000000047DC: D8EC5500 8C00002C
	ds_read_b64 v[142:143], v44 offset:21888                   // 0000000047E4: D8EC5580 8E00002C
	s_add_u32 s12, s56, s12                                    // 0000000047EC: 800C0C38
	s_addc_u32 s13, 0, s13                                     // 0000000047F0: 820D0D80
	s_add_u32 s16, s79, s16                                    // 0000000047F4: 8010104F
	s_addc_u32 s17, 0, s17                                     // 0000000047F8: 82111180
	s_mov_b32 s80, 0                                           // 0000000047FC: BED00080
	s_waitcnt vmcnt(0) expcnt(0) lgkmcnt(0)                    // 000000004800: BF8C0000

0000000000004804 <label_0681>:
	s_waitcnt vmcnt(21)                                        // 000000004804: BF8C4F75
	s_barrier                                                  // 000000004808: BF8A0000
	v_mfma_i32_16x16x32_i8 v[144:147], a[0:1], v[128:129], 0   // 00000000480C: D3D70090 0A030100
	v_mfma_i32_16x16x32_i8 v[144:147], a[2:3], v[130:131], v[144:147]// 000000004814: D3D70090 0E430502
	buffer_load_dwordx4 a[32:35], v34, s[12:15], 0 offen       // 00000000481C: E05C1000 80832022
	v_mfma_i32_16x16x32_i8 v[148:151], a[0:1], v[136:137], 0   // 000000004824: D3D70094 0A031100
	v_mfma_i32_16x16x32_i8 v[148:151], a[2:3], v[138:139], v[148:151]// 00000000482C: D3D70094 0E531502
	v_mfma_i32_16x16x32_i8 v[152:155], a[4:5], v[128:129], 0   // 000000004834: D3D70098 0A030104
	v_mfma_i32_16x16x32_i8 v[152:155], a[6:7], v[130:131], v[152:155]// 00000000483C: D3D70098 0E630506
	buffer_load_dwordx4 a[36:39], v35, s[12:15], 0 offen       // 000000004844: E05C1000 80832423
	v_mfma_i32_16x16x32_i8 v[156:159], a[4:5], v[136:137], 0   // 00000000484C: D3D7009C 0A031104
	v_mfma_i32_16x16x32_i8 v[156:159], a[6:7], v[138:139], v[156:159]// 000000004854: D3D7009C 0E731506
	v_mfma_i32_16x16x32_i8 v[160:163], a[8:9], v[128:129], 0   // 00000000485C: D3D700A0 0A030108
	v_mfma_i32_16x16x32_i8 v[160:163], a[10:11], v[130:131], v[160:163]// 000000004864: D3D700A0 0E83050A
	buffer_load_dwordx4 a[40:43], v36, s[12:15], 0 offen       // 00000000486C: E05C1000 80832824
	v_mfma_i32_16x16x32_i8 v[164:167], a[8:9], v[136:137], 0   // 000000004874: D3D700A4 0A031108
	v_mfma_i32_16x16x32_i8 v[164:167], a[10:11], v[138:139], v[164:167]// 00000000487C: D3D700A4 0E93150A
	v_mfma_i32_16x16x32_i8 v[168:171], a[12:13], v[128:129], 0 // 000000004884: D3D700A8 0A03010C
	v_mfma_i32_16x16x32_i8 v[168:171], a[14:15], v[130:131], v[168:171]// 00000000488C: D3D700A8 0EA3050E
	buffer_load_dwordx4 a[44:47], v37, s[12:15], 0 offen       // 000000004894: E05C1000 80832C25
	s_add_u32 s12, s78, s12                                    // 00000000489C: 800C0C4E
	s_addc_u32 s13, 0, s13                                     // 0000000048A0: 820D0D80
	v_mfma_i32_16x16x32_i8 v[172:175], a[12:13], v[136:137], 0 // 0000000048A4: D3D700AC 0A03110C
	v_mfma_i32_16x16x32_i8 v[172:175], a[14:15], v[138:139], v[172:175]// 0000000048AC: D3D700AC 0EB3150E
	s_waitcnt vmcnt(20)                                        // 0000000048B4: BF8C4F74
	v_mfma_i32_16x16x32_i8 v[144:147], a[16:17], v[132:133], v[144:147]// 0000000048B8: D3D70090 0E430910
	v_mfma_i32_16x16x32_i8 v[144:147], a[18:19], v[134:135], v[144:147]// 0000000048C0: D3D70090 0E430D12
	buffer_load_dwordx4 a[48:51], v34, s[12:15], 0 offen       // 0000000048C8: E05C1000 80833022
	v_mfma_i32_16x16x32_i8 v[148:151], a[16:17], v[140:141], v[148:151]// 0000000048D0: D3D70094 0E531910
	v_mfma_i32_16x16x32_i8 v[148:151], a[18:19], v[142:143], v[148:151]// 0000000048D8: D3D70094 0E531D12
	buffer_load_dword v12, v5, s[16:19], 0 offen               // 0000000048E0: E0501000 80040C05
	v_mfma_i32_16x16x32_i8 v[152:155], a[20:21], v[132:133], v[152:155]// 0000000048E8: D3D70098 0E630914
	v_mfma_i32_16x16x32_i8 v[152:155], a[22:23], v[134:135], v[152:155]// 0000000048F0: D3D70098 0E630D16
	buffer_load_dwordx4 a[52:55], v35, s[12:15], 0 offen       // 0000000048F8: E05C1000 80833423
	v_mfma_i32_16x16x32_i8 v[156:159], a[20:21], v[140:141], v[156:159]// 000000004900: D3D7009C 0E731914
	v_mfma_i32_16x16x32_i8 v[156:159], a[22:23], v[142:143], v[156:159]// 000000004908: D3D7009C 0E731D16
	v_mfma_i32_16x16x32_i8 v[160:163], a[24:25], v[132:133], v[160:163]// 000000004910: D3D700A0 0E830918
	v_mfma_i32_16x16x32_i8 v[160:163], a[26:27], v[134:135], v[160:163]// 000000004918: D3D700A0 0E830D1A
	buffer_load_dwordx4 a[56:59], v36, s[12:15], 0 offen       // 000000004920: E05C1000 80833824
	v_mfma_i32_16x16x32_i8 v[164:167], a[24:25], v[140:141], v[164:167]// 000000004928: D3D700A4 0E931918
	v_mfma_i32_16x16x32_i8 v[164:167], a[26:27], v[142:143], v[164:167]// 000000004930: D3D700A4 0E931D1A
	v_mfma_i32_16x16x32_i8 v[168:171], a[28:29], v[132:133], v[168:171]// 000000004938: D3D700A8 0EA3091C
	v_mfma_i32_16x16x32_i8 v[168:171], a[30:31], v[134:135], v[168:171]// 000000004940: D3D700A8 0EA30D1E
	buffer_load_dwordx4 a[60:63], v37, s[12:15], 0 offen       // 000000004948: E05C1000 80833C25
	v_mfma_i32_16x16x32_i8 v[172:175], a[28:29], v[140:141], v[172:175]// 000000004950: D3D700AC 0EB3191C
	v_mfma_i32_16x16x32_i8 v[172:175], a[30:31], v[142:143], v[172:175]// 000000004958: D3D700AC 0EB31D1E
	s_add_u32 s60, 0x200, s80                                  // 000000004960: 803C50FF 00000200
	s_cmp_lt_u32 s60, s81                                      // 000000004968: BF0A513C
	s_cselect_b32 s56, s56, 0                                  // 00000000496C: 85388038
	s_cselect_b32 s78, s78, 0                                  // 000000004970: 854E804E
	s_cselect_b32 s79, s79, 0                                  // 000000004974: 854F804F
	s_add_u32 s12, s56, s12                                    // 000000004978: 800C0C38
	s_addc_u32 s13, 0, s13                                     // 00000000497C: 820D0D80
	s_add_u32 s16, s79, s16                                    // 000000004980: 8010104F
	s_addc_u32 s17, 0, s17                                     // 000000004984: 82111180
	v_cvt_f32_i32_e32 v144, v144                               // 000000004988: 7F200B90
	v_cvt_f32_i32_e32 v145, v145                               // 00000000498C: 7F220B91
	v_cvt_f32_i32_e32 v146, v146                               // 000000004990: 7F240B92
	v_cvt_f32_i32_e32 v147, v147                               // 000000004994: 7F260B93
	v_mul_f32_e32 v144, v22, v144                              // 000000004998: 0B212116
	v_mul_f32_e32 v145, v22, v145                              // 00000000499C: 0B232316
	v_mul_f32_e32 v146, v22, v146                              // 0000000049A0: 0B252516
	v_mul_f32_e32 v147, v22, v147                              // 0000000049A4: 0B272716
	v_mul_f32_dpp v144, v11, v144 row_newbcast:0 row_mask:0xf bank_mask:0xf// 0000000049A8: 0B2120FA FF01500B
	v_mul_f32_dpp v145, v11, v145 row_newbcast:1 row_mask:0xf bank_mask:0xf// 0000000049B0: 0B2322FA FF01510B
	v_mul_f32_dpp v146, v11, v146 row_newbcast:2 row_mask:0xf bank_mask:0xf// 0000000049B8: 0B2524FA FF01520B
	v_mul_f32_dpp v147, v11, v147 row_newbcast:3 row_mask:0xf bank_mask:0xf// 0000000049C0: 0B2726FA FF01530B
	v_mul_f32_e32 v144, v17, v144                              // 0000000049C8: 0B212111
	v_mul_f32_e32 v145, v17, v145                              // 0000000049CC: 0B232311
	v_mul_f32_e32 v146, v17, v146                              // 0000000049D0: 0B252511
	v_mul_f32_e32 v147, v17, v147                              // 0000000049D4: 0B272711
	v_cvt_f32_i32_e32 v148, v148                               // 0000000049D8: 7F280B94
	v_cvt_f32_i32_e32 v149, v149                               // 0000000049DC: 7F2A0B95
	v_cvt_f32_i32_e32 v150, v150                               // 0000000049E0: 7F2C0B96
	v_cvt_f32_i32_e32 v151, v151                               // 0000000049E4: 7F2E0B97
	v_mul_f32_e32 v148, v23, v148                              // 0000000049E8: 0B292917
	v_mul_f32_e32 v149, v23, v149                              // 0000000049EC: 0B2B2B17
	v_mul_f32_e32 v150, v23, v150                              // 0000000049F0: 0B2D2D17
	v_mul_f32_e32 v151, v23, v151                              // 0000000049F4: 0B2F2F17
	v_mul_f32_dpp v148, v11, v148 row_newbcast:0 row_mask:0xf bank_mask:0xf// 0000000049F8: 0B2928FA FF01500B
	v_mul_f32_dpp v149, v11, v149 row_newbcast:1 row_mask:0xf bank_mask:0xf// 000000004A00: 0B2B2AFA FF01510B
	v_mul_f32_dpp v150, v11, v150 row_newbcast:2 row_mask:0xf bank_mask:0xf// 000000004A08: 0B2D2CFA FF01520B
	v_mul_f32_dpp v151, v11, v151 row_newbcast:3 row_mask:0xf bank_mask:0xf// 000000004A10: 0B2F2EFA FF01530B
	v_mul_f32_e32 v148, v18, v148                              // 000000004A18: 0B292912
	v_mul_f32_e32 v149, v18, v149                              // 000000004A1C: 0B2B2B12
	v_mul_f32_e32 v150, v18, v150                              // 000000004A20: 0B2D2D12
	v_mul_f32_e32 v151, v18, v151                              // 000000004A24: 0B2F2F12
	v_cvt_f32_i32_e32 v152, v152                               // 000000004A28: 7F300B98
	v_cvt_f32_i32_e32 v153, v153                               // 000000004A2C: 7F320B99
	v_cvt_f32_i32_e32 v154, v154                               // 000000004A30: 7F340B9A
	v_cvt_f32_i32_e32 v155, v155                               // 000000004A34: 7F360B9B
	v_mul_f32_e32 v152, v22, v152                              // 000000004A38: 0B313116
	v_mul_f32_e32 v153, v22, v153                              // 000000004A3C: 0B333316
	v_mul_f32_e32 v154, v22, v154                              // 000000004A40: 0B353516
	v_mul_f32_e32 v155, v22, v155                              // 000000004A44: 0B373716
	v_mul_f32_dpp v152, v11, v152 row_newbcast:4 row_mask:0xf bank_mask:0xf// 000000004A48: 0B3130FA FF01540B
	v_mul_f32_dpp v153, v11, v153 row_newbcast:5 row_mask:0xf bank_mask:0xf// 000000004A50: 0B3332FA FF01550B
	v_mul_f32_dpp v154, v11, v154 row_newbcast:6 row_mask:0xf bank_mask:0xf// 000000004A58: 0B3534FA FF01560B
	v_mul_f32_dpp v155, v11, v155 row_newbcast:7 row_mask:0xf bank_mask:0xf// 000000004A60: 0B3736FA FF01570B
	v_mul_f32_e32 v152, v17, v152                              // 000000004A68: 0B313111
	v_mul_f32_e32 v153, v17, v153                              // 000000004A6C: 0B333311
	v_mul_f32_e32 v154, v17, v154                              // 000000004A70: 0B353511
	v_mul_f32_e32 v155, v17, v155                              // 000000004A74: 0B373711
	v_cvt_f32_i32_e32 v156, v156                               // 000000004A78: 7F380B9C
	v_cvt_f32_i32_e32 v157, v157                               // 000000004A7C: 7F3A0B9D
	v_cvt_f32_i32_e32 v158, v158                               // 000000004A80: 7F3C0B9E
	v_cvt_f32_i32_e32 v159, v159                               // 000000004A84: 7F3E0B9F
	v_mul_f32_e32 v156, v23, v156                              // 000000004A88: 0B393917
	v_mul_f32_e32 v157, v23, v157                              // 000000004A8C: 0B3B3B17
	v_mul_f32_e32 v158, v23, v158                              // 000000004A90: 0B3D3D17
	v_mul_f32_e32 v159, v23, v159                              // 000000004A94: 0B3F3F17
	v_mul_f32_dpp v156, v11, v156 row_newbcast:4 row_mask:0xf bank_mask:0xf// 000000004A98: 0B3938FA FF01540B
	v_mul_f32_dpp v157, v11, v157 row_newbcast:5 row_mask:0xf bank_mask:0xf// 000000004AA0: 0B3B3AFA FF01550B
	v_mul_f32_dpp v158, v11, v158 row_newbcast:6 row_mask:0xf bank_mask:0xf// 000000004AA8: 0B3D3CFA FF01560B
	v_mul_f32_dpp v159, v11, v159 row_newbcast:7 row_mask:0xf bank_mask:0xf// 000000004AB0: 0B3F3EFA FF01570B
	v_mul_f32_e32 v156, v18, v156                              // 000000004AB8: 0B393912
	v_mul_f32_e32 v157, v18, v157                              // 000000004ABC: 0B3B3B12
	v_mul_f32_e32 v158, v18, v158                              // 000000004AC0: 0B3D3D12
	v_mul_f32_e32 v159, v18, v159                              // 000000004AC4: 0B3F3F12
	v_cvt_f32_i32_e32 v160, v160                               // 000000004AC8: 7F400BA0
	v_cvt_f32_i32_e32 v161, v161                               // 000000004ACC: 7F420BA1
	v_cvt_f32_i32_e32 v162, v162                               // 000000004AD0: 7F440BA2
	v_cvt_f32_i32_e32 v163, v163                               // 000000004AD4: 7F460BA3
	v_mul_f32_e32 v160, v22, v160                              // 000000004AD8: 0B414116
	v_mul_f32_e32 v161, v22, v161                              // 000000004ADC: 0B434316
	v_mul_f32_e32 v162, v22, v162                              // 000000004AE0: 0B454516
	v_mul_f32_e32 v163, v22, v163                              // 000000004AE4: 0B474716
	v_mul_f32_dpp v160, v11, v160 row_newbcast:8 row_mask:0xf bank_mask:0xf// 000000004AE8: 0B4140FA FF01580B
	v_mul_f32_dpp v161, v11, v161 row_newbcast:9 row_mask:0xf bank_mask:0xf// 000000004AF0: 0B4342FA FF01590B
	v_mul_f32_dpp v162, v11, v162 row_newbcast:10 row_mask:0xf bank_mask:0xf// 000000004AF8: 0B4544FA FF015A0B
	v_mul_f32_dpp v163, v11, v163 row_newbcast:11 row_mask:0xf bank_mask:0xf// 000000004B00: 0B4746FA FF015B0B
	v_mul_f32_e32 v160, v17, v160                              // 000000004B08: 0B414111
	v_mul_f32_e32 v161, v17, v161                              // 000000004B0C: 0B434311
	v_mul_f32_e32 v162, v17, v162                              // 000000004B10: 0B454511
	v_mul_f32_e32 v163, v17, v163                              // 000000004B14: 0B474711
	v_cvt_f32_i32_e32 v164, v164                               // 000000004B18: 7F480BA4
	v_cvt_f32_i32_e32 v165, v165                               // 000000004B1C: 7F4A0BA5
	v_cvt_f32_i32_e32 v166, v166                               // 000000004B20: 7F4C0BA6
	v_cvt_f32_i32_e32 v167, v167                               // 000000004B24: 7F4E0BA7
	v_mul_f32_e32 v164, v23, v164                              // 000000004B28: 0B494917
	v_mul_f32_e32 v165, v23, v165                              // 000000004B2C: 0B4B4B17
	v_mul_f32_e32 v166, v23, v166                              // 000000004B30: 0B4D4D17
	v_mul_f32_e32 v167, v23, v167                              // 000000004B34: 0B4F4F17
	v_mul_f32_dpp v164, v11, v164 row_newbcast:8 row_mask:0xf bank_mask:0xf// 000000004B38: 0B4948FA FF01580B
	v_mul_f32_dpp v165, v11, v165 row_newbcast:9 row_mask:0xf bank_mask:0xf// 000000004B40: 0B4B4AFA FF01590B
	v_mul_f32_dpp v166, v11, v166 row_newbcast:10 row_mask:0xf bank_mask:0xf// 000000004B48: 0B4D4CFA FF015A0B
	v_mul_f32_dpp v167, v11, v167 row_newbcast:11 row_mask:0xf bank_mask:0xf// 000000004B50: 0B4F4EFA FF015B0B
	v_mul_f32_e32 v164, v18, v164                              // 000000004B58: 0B494912
	v_mul_f32_e32 v165, v18, v165                              // 000000004B5C: 0B4B4B12
	v_mul_f32_e32 v166, v18, v166                              // 000000004B60: 0B4D4D12
	v_mul_f32_e32 v167, v18, v167                              // 000000004B64: 0B4F4F12
	v_cvt_f32_i32_e32 v168, v168                               // 000000004B68: 7F500BA8
	v_cvt_f32_i32_e32 v169, v169                               // 000000004B6C: 7F520BA9
	v_cvt_f32_i32_e32 v170, v170                               // 000000004B70: 7F540BAA
	v_cvt_f32_i32_e32 v171, v171                               // 000000004B74: 7F560BAB
	v_mul_f32_e32 v168, v22, v168                              // 000000004B78: 0B515116
	v_mul_f32_e32 v169, v22, v169                              // 000000004B7C: 0B535316
	v_mul_f32_e32 v170, v22, v170                              // 000000004B80: 0B555516
	v_mul_f32_e32 v171, v22, v171                              // 000000004B84: 0B575716
	v_mul_f32_dpp v168, v11, v168 row_newbcast:12 row_mask:0xf bank_mask:0xf// 000000004B88: 0B5150FA FF015C0B
	v_mul_f32_dpp v169, v11, v169 row_newbcast:13 row_mask:0xf bank_mask:0xf// 000000004B90: 0B5352FA FF015D0B
	v_mul_f32_dpp v170, v11, v170 row_newbcast:14 row_mask:0xf bank_mask:0xf// 000000004B98: 0B5554FA FF015E0B
	v_mul_f32_dpp v171, v11, v171 row_newbcast:15 row_mask:0xf bank_mask:0xf// 000000004BA0: 0B5756FA FF015F0B
	v_mul_f32_e32 v168, v17, v168                              // 000000004BA8: 0B515111
	v_mul_f32_e32 v169, v17, v169                              // 000000004BAC: 0B535311
	v_mul_f32_e32 v170, v17, v170                              // 000000004BB0: 0B555511
	v_mul_f32_e32 v171, v17, v171                              // 000000004BB4: 0B575711
	v_cvt_f32_i32_e32 v172, v172                               // 000000004BB8: 7F580BAC
	v_cvt_f32_i32_e32 v173, v173                               // 000000004BBC: 7F5A0BAD
	v_cvt_f32_i32_e32 v174, v174                               // 000000004BC0: 7F5C0BAE
	v_cvt_f32_i32_e32 v175, v175                               // 000000004BC4: 7F5E0BAF
	v_mul_f32_e32 v172, v23, v172                              // 000000004BC8: 0B595917
	v_mul_f32_e32 v173, v23, v173                              // 000000004BCC: 0B5B5B17
	v_mul_f32_e32 v174, v23, v174                              // 000000004BD0: 0B5D5D17
	v_mul_f32_e32 v175, v23, v175                              // 000000004BD4: 0B5F5F17
	v_mul_f32_dpp v172, v11, v172 row_newbcast:12 row_mask:0xf bank_mask:0xf// 000000004BD8: 0B5958FA FF015C0B
	v_mul_f32_dpp v173, v11, v173 row_newbcast:13 row_mask:0xf bank_mask:0xf// 000000004BE0: 0B5B5AFA FF015D0B
	v_mul_f32_dpp v174, v11, v174 row_newbcast:14 row_mask:0xf bank_mask:0xf// 000000004BE8: 0B5D5CFA FF015E0B
	v_mul_f32_dpp v175, v11, v175 row_newbcast:15 row_mask:0xf bank_mask:0xf// 000000004BF0: 0B5F5EFA FF015F0B
	v_mul_f32_e32 v172, v18, v172                              // 000000004BF8: 0B595912
	v_mul_f32_e32 v173, v18, v173                              // 000000004BFC: 0B5B5B12
	v_mul_f32_e32 v174, v18, v174                              // 000000004C00: 0B5D5D12
	v_mul_f32_e32 v175, v18, v175                              // 000000004C04: 0B5F5F12
	v_cvt_pkrtz_f16_f32 v144, v144, v145                       // 000000004C08: D2960090 00032390
	v_cvt_pkrtz_f16_f32 v145, v146, v147                       // 000000004C10: D2960091 00032792
	v_cvt_pkrtz_f16_f32 v146, v148, v149                       // 000000004C18: D2960092 00032B94
	v_cvt_pkrtz_f16_f32 v147, v150, v151                       // 000000004C20: D2960093 00032F96
	v_cvt_pkrtz_f16_f32 v148, v152, v153                       // 000000004C28: D2960094 00033398
	v_cvt_pkrtz_f16_f32 v149, v154, v155                       // 000000004C30: D2960095 0003379A
	v_cvt_pkrtz_f16_f32 v150, v156, v157                       // 000000004C38: D2960096 00033B9C
	v_cvt_pkrtz_f16_f32 v151, v158, v159                       // 000000004C40: D2960097 00033F9E
	v_cvt_pkrtz_f16_f32 v152, v160, v161                       // 000000004C48: D2960098 000343A0
	v_cvt_pkrtz_f16_f32 v153, v162, v163                       // 000000004C50: D2960099 000347A2
	v_cvt_pkrtz_f16_f32 v154, v164, v165                       // 000000004C58: D296009A 00034BA4
	v_cvt_pkrtz_f16_f32 v155, v166, v167                       // 000000004C60: D296009B 00034FA6
	v_cvt_pkrtz_f16_f32 v156, v168, v169                       // 000000004C68: D296009C 000353A8
	v_cvt_pkrtz_f16_f32 v157, v170, v171                       // 000000004C70: D296009D 000357AA
	v_cvt_pkrtz_f16_f32 v158, v172, v173                       // 000000004C78: D296009E 00035BAC
	v_cvt_pkrtz_f16_f32 v159, v174, v175                       // 000000004C80: D296009F 00035FAE
	ds_write_b64 v3, v[144:145] offset:22784                   // 000000004C88: D89A5900 00009003
	ds_write_b64 v3, v[146:147] offset:31488                   // 000000004C90: D89A7B00 00009203
	ds_write_b64 v3, v[148:149] offset:24960                   // 000000004C98: D89A6180 00009403
	ds_write_b64 v3, v[150:151] offset:33664                   // 000000004CA0: D89A8380 00009603
	ds_write_b64 v3, v[152:153] offset:27136                   // 000000004CA8: D89A6A00 00009803
	ds_write_b64 v3, v[154:155] offset:35840                   // 000000004CB0: D89A8C00 00009A03
	ds_write_b64 v3, v[156:157] offset:29312                   // 000000004CB8: D89A7280 00009C03
	ds_write_b64 v3, v[158:159] offset:38016                   // 000000004CC0: D89A9480 00009E03
	s_waitcnt lgkmcnt(0)                                       // 000000004CC8: BF8CC07F
	s_barrier                                                  // 000000004CCC: BF8A0000
	ds_read_b32 v64, v4 offset:22784                           // 000000004CD0: D86C5900 40000004
	ds_read_b32 v65, v4 offset:27136                           // 000000004CD8: D86C6A00 41000004
	ds_read_b32 v66, v4 offset:22816                           // 000000004CE0: D86C5920 42000004
	ds_read_b32 v67, v4 offset:27168                           // 000000004CE8: D86C6A20 43000004
	ds_read_b32 v68, v4 offset:22848                           // 000000004CF0: D86C5940 44000004
	ds_read_b32 v69, v4 offset:27200                           // 000000004CF8: D86C6A40 45000004
	ds_read_b32 v70, v4 offset:22880                           // 000000004D00: D86C5960 46000004
	ds_read_b32 v71, v4 offset:27232                           // 000000004D08: D86C6A60 47000004
	ds_read_b32 v72, v4 offset:31488                           // 000000004D10: D86C7B00 48000004
	ds_read_b32 v73, v4 offset:35840                           // 000000004D18: D86C8C00 49000004
	ds_read_b32 v74, v4 offset:31520                           // 000000004D20: D86C7B20 4A000004
	ds_read_b32 v75, v4 offset:35872                           // 000000004D28: D86C8C20 4B000004
	ds_read_b32 v76, v4 offset:31552                           // 000000004D30: D86C7B40 4C000004
	ds_read_b32 v77, v4 offset:35904                           // 000000004D38: D86C8C40 4D000004
	ds_read_b32 v78, v4 offset:31584                           // 000000004D40: D86C7B60 4E000004
	ds_read_b32 v79, v4 offset:35936                           // 000000004D48: D86C8C60 4F000004
	s_waitcnt lgkmcnt(0)                                       // 000000004D50: BF8CC07F
	s_mov_b64 exec, s[20:21]                                   // 000000004D54: BEFE0114
	global_atomic_pk_add_f16 v80, v64, s[8:9]                  // 000000004D58: DD388000 00084050
	s_mov_b64 exec, s[36:37]                                   // 000000004D60: BEFE0124
	s_mov_b64 exec, s[20:21]                                   // 000000004D64: BEFE0114
	global_atomic_pk_add_f16 v80, v65, s[8:9] offset:256       // 000000004D68: DD388100 00084150
	s_mov_b64 exec, s[36:37]                                   // 000000004D70: BEFE0124
	s_mov_b64 exec, s[22:23]                                   // 000000004D74: BEFE0116
	global_atomic_pk_add_f16 v82, v66, s[8:9]                  // 000000004D78: DD388000 00084252
	s_mov_b64 exec, s[36:37]                                   // 000000004D80: BEFE0124
	s_mov_b64 exec, s[22:23]                                   // 000000004D84: BEFE0116
	global_atomic_pk_add_f16 v82, v67, s[8:9] offset:256       // 000000004D88: DD388100 00084352
	s_mov_b64 exec, s[36:37]                                   // 000000004D90: BEFE0124
	s_mov_b64 exec, s[24:25]                                   // 000000004D94: BEFE0118
	global_atomic_pk_add_f16 v84, v68, s[8:9]                  // 000000004D98: DD388000 00084454
	s_mov_b64 exec, s[36:37]                                   // 000000004DA0: BEFE0124
	s_mov_b64 exec, s[24:25]                                   // 000000004DA4: BEFE0118
	global_atomic_pk_add_f16 v84, v69, s[8:9] offset:256       // 000000004DA8: DD388100 00084554
	s_mov_b64 exec, s[36:37]                                   // 000000004DB0: BEFE0124
	s_mov_b64 exec, s[26:27]                                   // 000000004DB4: BEFE011A
	global_atomic_pk_add_f16 v86, v70, s[8:9]                  // 000000004DB8: DD388000 00084656
	s_mov_b64 exec, s[36:37]                                   // 000000004DC0: BEFE0124
	s_mov_b64 exec, s[26:27]                                   // 000000004DC4: BEFE011A
	global_atomic_pk_add_f16 v86, v71, s[8:9] offset:256       // 000000004DC8: DD388100 00084756
	s_mov_b64 exec, s[36:37]                                   // 000000004DD0: BEFE0124
	s_mov_b64 exec, s[28:29]                                   // 000000004DD4: BEFE011C
	global_atomic_pk_add_f16 v88, v72, s[8:9]                  // 000000004DD8: DD388000 00084858
	s_mov_b64 exec, s[36:37]                                   // 000000004DE0: BEFE0124
	s_mov_b64 exec, s[28:29]                                   // 000000004DE4: BEFE011C
	global_atomic_pk_add_f16 v88, v73, s[8:9] offset:256       // 000000004DE8: DD388100 00084958
	s_mov_b64 exec, s[36:37]                                   // 000000004DF0: BEFE0124
	s_mov_b64 exec, s[30:31]                                   // 000000004DF4: BEFE011E
	global_atomic_pk_add_f16 v90, v74, s[8:9]                  // 000000004DF8: DD388000 00084A5A
	s_mov_b64 exec, s[36:37]                                   // 000000004E00: BEFE0124
	s_mov_b64 exec, s[30:31]                                   // 000000004E04: BEFE011E
	global_atomic_pk_add_f16 v90, v75, s[8:9] offset:256       // 000000004E08: DD388100 00084B5A
	s_mov_b64 exec, s[36:37]                                   // 000000004E10: BEFE0124
	s_mov_b64 exec, s[32:33]                                   // 000000004E14: BEFE0120
	global_atomic_pk_add_f16 v92, v76, s[8:9]                  // 000000004E18: DD388000 00084C5C
	s_mov_b64 exec, s[36:37]                                   // 000000004E20: BEFE0124
	s_mov_b64 exec, s[32:33]                                   // 000000004E24: BEFE0120
	global_atomic_pk_add_f16 v92, v77, s[8:9] offset:256       // 000000004E28: DD388100 00084D5C
	s_mov_b64 exec, s[36:37]                                   // 000000004E30: BEFE0124
	s_mov_b64 exec, s[34:35]                                   // 000000004E34: BEFE0122
	global_atomic_pk_add_f16 v94, v78, s[8:9]                  // 000000004E38: DD388000 00084E5E
	s_mov_b64 exec, s[36:37]                                   // 000000004E40: BEFE0124
	s_mov_b64 exec, s[34:35]                                   // 000000004E44: BEFE0122
	global_atomic_pk_add_f16 v94, v79, s[8:9] offset:256       // 000000004E48: DD388100 00084F5E
	s_mov_b64 exec, s[36:37]                                   // 000000004E50: BEFE0124
	s_add_u32 s8, s59, s8                                      // 000000004E54: 8008083B
	s_addc_u32 s9, 0, s9                                       // 000000004E58: 82090980
	s_addk_i32 s80, 0x100                                      // 000000004E5C: B7500100
	s_cmp_lt_i32 s80, s81                                      // 000000004E60: BF045150
	s_cbranch_scc0 label_09B4                                  // 000000004E64: BF84019A
	s_waitcnt vmcnt(21)                                        // 000000004E68: BF8C4F75
	s_barrier                                                  // 000000004E6C: BF8A0000
	v_mfma_i32_16x16x32_i8 v[176:179], a[32:33], v[128:129], 0 // 000000004E70: D3D700B0 0A030120
	v_mfma_i32_16x16x32_i8 v[176:179], a[34:35], v[130:131], v[176:179]// 000000004E78: D3D700B0 0EC30522
	buffer_load_dwordx4 a[0:3], v34, s[12:15], 0 offen         // 000000004E80: E05C1000 80830022
	v_mfma_i32_16x16x32_i8 v[180:183], a[32:33], v[136:137], 0 // 000000004E88: D3D700B4 0A031120
	v_mfma_i32_16x16x32_i8 v[180:183], a[34:35], v[138:139], v[180:183]// 000000004E90: D3D700B4 0ED31522
	v_mfma_i32_16x16x32_i8 v[184:187], a[36:37], v[128:129], 0 // 000000004E98: D3D700B8 0A030124
	v_mfma_i32_16x16x32_i8 v[184:187], a[38:39], v[130:131], v[184:187]// 000000004EA0: D3D700B8 0EE30526
	buffer_load_dwordx4 a[4:7], v35, s[12:15], 0 offen         // 000000004EA8: E05C1000 80830423
	v_mfma_i32_16x16x32_i8 v[188:191], a[36:37], v[136:137], 0 // 000000004EB0: D3D700BC 0A031124
	v_mfma_i32_16x16x32_i8 v[188:191], a[38:39], v[138:139], v[188:191]// 000000004EB8: D3D700BC 0EF31526
	v_mfma_i32_16x16x32_i8 v[192:195], a[40:41], v[128:129], 0 // 000000004EC0: D3D700C0 0A030128
	v_mfma_i32_16x16x32_i8 v[192:195], a[42:43], v[130:131], v[192:195]// 000000004EC8: D3D700C0 0F03052A
	buffer_load_dwordx4 a[8:11], v36, s[12:15], 0 offen        // 000000004ED0: E05C1000 80830824
	v_mfma_i32_16x16x32_i8 v[196:199], a[40:41], v[136:137], 0 // 000000004ED8: D3D700C4 0A031128
	v_mfma_i32_16x16x32_i8 v[196:199], a[42:43], v[138:139], v[196:199]// 000000004EE0: D3D700C4 0F13152A
	v_mfma_i32_16x16x32_i8 v[200:203], a[44:45], v[128:129], 0 // 000000004EE8: D3D700C8 0A03012C
	v_mfma_i32_16x16x32_i8 v[200:203], a[46:47], v[130:131], v[200:203]// 000000004EF0: D3D700C8 0F23052E
	buffer_load_dwordx4 a[12:15], v37, s[12:15], 0 offen       // 000000004EF8: E05C1000 80830C25
	s_add_u32 s12, s78, s12                                    // 000000004F00: 800C0C4E
	s_addc_u32 s13, 0, s13                                     // 000000004F04: 820D0D80
	v_mfma_i32_16x16x32_i8 v[204:207], a[44:45], v[136:137], 0 // 000000004F08: D3D700CC 0A03112C
	v_mfma_i32_16x16x32_i8 v[204:207], a[46:47], v[138:139], v[204:207]// 000000004F10: D3D700CC 0F33152E
	s_waitcnt vmcnt(20)                                        // 000000004F18: BF8C4F74
	v_mfma_i32_16x16x32_i8 v[176:179], a[48:49], v[132:133], v[176:179]// 000000004F1C: D3D700B0 0EC30930
	v_mfma_i32_16x16x32_i8 v[176:179], a[50:51], v[134:135], v[176:179]// 000000004F24: D3D700B0 0EC30D32
	buffer_load_dwordx4 a[16:19], v34, s[12:15], 0 offen       // 000000004F2C: E05C1000 80831022
	v_mfma_i32_16x16x32_i8 v[180:183], a[48:49], v[140:141], v[180:183]// 000000004F34: D3D700B4 0ED31930
	v_mfma_i32_16x16x32_i8 v[180:183], a[50:51], v[142:143], v[180:183]// 000000004F3C: D3D700B4 0ED31D32
	buffer_load_dword v11, v5, s[16:19], 0 offen               // 000000004F44: E0501000 80040B05
	v_mfma_i32_16x16x32_i8 v[184:187], a[52:53], v[132:133], v[184:187]// 000000004F4C: D3D700B8 0EE30934
	v_mfma_i32_16x16x32_i8 v[184:187], a[54:55], v[134:135], v[184:187]// 000000004F54: D3D700B8 0EE30D36
	buffer_load_dwordx4 a[20:23], v35, s[12:15], 0 offen       // 000000004F5C: E05C1000 80831423
	v_mfma_i32_16x16x32_i8 v[188:191], a[52:53], v[140:141], v[188:191]// 000000004F64: D3D700BC 0EF31934
	v_mfma_i32_16x16x32_i8 v[188:191], a[54:55], v[142:143], v[188:191]// 000000004F6C: D3D700BC 0EF31D36
	v_mfma_i32_16x16x32_i8 v[192:195], a[56:57], v[132:133], v[192:195]// 000000004F74: D3D700C0 0F030938
	v_mfma_i32_16x16x32_i8 v[192:195], a[58:59], v[134:135], v[192:195]// 000000004F7C: D3D700C0 0F030D3A
	buffer_load_dwordx4 a[24:27], v36, s[12:15], 0 offen       // 000000004F84: E05C1000 80831824
	v_mfma_i32_16x16x32_i8 v[196:199], a[56:57], v[140:141], v[196:199]// 000000004F8C: D3D700C4 0F131938
	v_mfma_i32_16x16x32_i8 v[196:199], a[58:59], v[142:143], v[196:199]// 000000004F94: D3D700C4 0F131D3A
	v_mfma_i32_16x16x32_i8 v[200:203], a[60:61], v[132:133], v[200:203]// 000000004F9C: D3D700C8 0F23093C
	v_mfma_i32_16x16x32_i8 v[200:203], a[62:63], v[134:135], v[200:203]// 000000004FA4: D3D700C8 0F230D3E
	buffer_load_dwordx4 a[28:31], v37, s[12:15], 0 offen       // 000000004FAC: E05C1000 80831C25
	v_mfma_i32_16x16x32_i8 v[204:207], a[60:61], v[140:141], v[204:207]// 000000004FB4: D3D700CC 0F33193C
	v_mfma_i32_16x16x32_i8 v[204:207], a[62:63], v[142:143], v[204:207]// 000000004FBC: D3D700CC 0F331D3E
	s_add_u32 s60, 0x200, s80                                  // 000000004FC4: 803C50FF 00000200
	s_cmp_lt_u32 s60, s81                                      // 000000004FCC: BF0A513C
	s_cselect_b32 s56, s56, 0                                  // 000000004FD0: 85388038
	s_cselect_b32 s78, s78, 0                                  // 000000004FD4: 854E804E
	s_cselect_b32 s79, s79, 0                                  // 000000004FD8: 854F804F
	s_add_u32 s12, s56, s12                                    // 000000004FDC: 800C0C38
	s_addc_u32 s13, 0, s13                                     // 000000004FE0: 820D0D80
	s_add_u32 s16, s79, s16                                    // 000000004FE4: 8010104F
	s_addc_u32 s17, 0, s17                                     // 000000004FE8: 82111180
	v_cvt_f32_i32_e32 v176, v176                               // 000000004FEC: 7F600BB0
	v_cvt_f32_i32_e32 v177, v177                               // 000000004FF0: 7F620BB1
	v_cvt_f32_i32_e32 v178, v178                               // 000000004FF4: 7F640BB2
	v_cvt_f32_i32_e32 v179, v179                               // 000000004FF8: 7F660BB3
	v_mul_f32_e32 v176, v22, v176                              // 000000004FFC: 0B616116
	v_mul_f32_e32 v177, v22, v177                              // 000000005000: 0B636316
	v_mul_f32_e32 v178, v22, v178                              // 000000005004: 0B656516
	v_mul_f32_e32 v179, v22, v179                              // 000000005008: 0B676716
	v_mul_f32_dpp v176, v12, v176 row_newbcast:0 row_mask:0xf bank_mask:0xf// 00000000500C: 0B6160FA FF01500C
	v_mul_f32_dpp v177, v12, v177 row_newbcast:1 row_mask:0xf bank_mask:0xf// 000000005014: 0B6362FA FF01510C
	v_mul_f32_dpp v178, v12, v178 row_newbcast:2 row_mask:0xf bank_mask:0xf// 00000000501C: 0B6564FA FF01520C
	v_mul_f32_dpp v179, v12, v179 row_newbcast:3 row_mask:0xf bank_mask:0xf// 000000005024: 0B6766FA FF01530C
	v_mul_f32_e32 v176, v17, v176                              // 00000000502C: 0B616111
	v_mul_f32_e32 v177, v17, v177                              // 000000005030: 0B636311
	v_mul_f32_e32 v178, v17, v178                              // 000000005034: 0B656511
	v_mul_f32_e32 v179, v17, v179                              // 000000005038: 0B676711
	v_cvt_f32_i32_e32 v180, v180                               // 00000000503C: 7F680BB4
	v_cvt_f32_i32_e32 v181, v181                               // 000000005040: 7F6A0BB5
	v_cvt_f32_i32_e32 v182, v182                               // 000000005044: 7F6C0BB6
	v_cvt_f32_i32_e32 v183, v183                               // 000000005048: 7F6E0BB7
	v_mul_f32_e32 v180, v23, v180                              // 00000000504C: 0B696917
	v_mul_f32_e32 v181, v23, v181                              // 000000005050: 0B6B6B17
	v_mul_f32_e32 v182, v23, v182                              // 000000005054: 0B6D6D17
	v_mul_f32_e32 v183, v23, v183                              // 000000005058: 0B6F6F17
	v_mul_f32_dpp v180, v12, v180 row_newbcast:0 row_mask:0xf bank_mask:0xf// 00000000505C: 0B6968FA FF01500C
	v_mul_f32_dpp v181, v12, v181 row_newbcast:1 row_mask:0xf bank_mask:0xf// 000000005064: 0B6B6AFA FF01510C
	v_mul_f32_dpp v182, v12, v182 row_newbcast:2 row_mask:0xf bank_mask:0xf// 00000000506C: 0B6D6CFA FF01520C
	v_mul_f32_dpp v183, v12, v183 row_newbcast:3 row_mask:0xf bank_mask:0xf// 000000005074: 0B6F6EFA FF01530C
	v_mul_f32_e32 v180, v18, v180                              // 00000000507C: 0B696912
	v_mul_f32_e32 v181, v18, v181                              // 000000005080: 0B6B6B12
	v_mul_f32_e32 v182, v18, v182                              // 000000005084: 0B6D6D12
	v_mul_f32_e32 v183, v18, v183                              // 000000005088: 0B6F6F12
	v_cvt_f32_i32_e32 v184, v184                               // 00000000508C: 7F700BB8
	v_cvt_f32_i32_e32 v185, v185                               // 000000005090: 7F720BB9
	v_cvt_f32_i32_e32 v186, v186                               // 000000005094: 7F740BBA
	v_cvt_f32_i32_e32 v187, v187                               // 000000005098: 7F760BBB
	v_mul_f32_e32 v184, v22, v184                              // 00000000509C: 0B717116
	v_mul_f32_e32 v185, v22, v185                              // 0000000050A0: 0B737316
	v_mul_f32_e32 v186, v22, v186                              // 0000000050A4: 0B757516
	v_mul_f32_e32 v187, v22, v187                              // 0000000050A8: 0B777716
	v_mul_f32_dpp v184, v12, v184 row_newbcast:4 row_mask:0xf bank_mask:0xf// 0000000050AC: 0B7170FA FF01540C
	v_mul_f32_dpp v185, v12, v185 row_newbcast:5 row_mask:0xf bank_mask:0xf// 0000000050B4: 0B7372FA FF01550C
	v_mul_f32_dpp v186, v12, v186 row_newbcast:6 row_mask:0xf bank_mask:0xf// 0000000050BC: 0B7574FA FF01560C
	v_mul_f32_dpp v187, v12, v187 row_newbcast:7 row_mask:0xf bank_mask:0xf// 0000000050C4: 0B7776FA FF01570C
	v_mul_f32_e32 v184, v17, v184                              // 0000000050CC: 0B717111
	v_mul_f32_e32 v185, v17, v185                              // 0000000050D0: 0B737311
	v_mul_f32_e32 v186, v17, v186                              // 0000000050D4: 0B757511
	v_mul_f32_e32 v187, v17, v187                              // 0000000050D8: 0B777711
	v_cvt_f32_i32_e32 v188, v188                               // 0000000050DC: 7F780BBC
	v_cvt_f32_i32_e32 v189, v189                               // 0000000050E0: 7F7A0BBD
	v_cvt_f32_i32_e32 v190, v190                               // 0000000050E4: 7F7C0BBE
	v_cvt_f32_i32_e32 v191, v191                               // 0000000050E8: 7F7E0BBF
	v_mul_f32_e32 v188, v23, v188                              // 0000000050EC: 0B797917
	v_mul_f32_e32 v189, v23, v189                              // 0000000050F0: 0B7B7B17
	v_mul_f32_e32 v190, v23, v190                              // 0000000050F4: 0B7D7D17
	v_mul_f32_e32 v191, v23, v191                              // 0000000050F8: 0B7F7F17
	v_mul_f32_dpp v188, v12, v188 row_newbcast:4 row_mask:0xf bank_mask:0xf// 0000000050FC: 0B7978FA FF01540C
	v_mul_f32_dpp v189, v12, v189 row_newbcast:5 row_mask:0xf bank_mask:0xf// 000000005104: 0B7B7AFA FF01550C
	v_mul_f32_dpp v190, v12, v190 row_newbcast:6 row_mask:0xf bank_mask:0xf// 00000000510C: 0B7D7CFA FF01560C
	v_mul_f32_dpp v191, v12, v191 row_newbcast:7 row_mask:0xf bank_mask:0xf// 000000005114: 0B7F7EFA FF01570C
	v_mul_f32_e32 v188, v18, v188                              // 00000000511C: 0B797912
	v_mul_f32_e32 v189, v18, v189                              // 000000005120: 0B7B7B12
	v_mul_f32_e32 v190, v18, v190                              // 000000005124: 0B7D7D12
	v_mul_f32_e32 v191, v18, v191                              // 000000005128: 0B7F7F12
	v_cvt_f32_i32_e32 v192, v192                               // 00000000512C: 7F800BC0
	v_cvt_f32_i32_e32 v193, v193                               // 000000005130: 7F820BC1
	v_cvt_f32_i32_e32 v194, v194                               // 000000005134: 7F840BC2
	v_cvt_f32_i32_e32 v195, v195                               // 000000005138: 7F860BC3
	v_mul_f32_e32 v192, v22, v192                              // 00000000513C: 0B818116
	v_mul_f32_e32 v193, v22, v193                              // 000000005140: 0B838316
	v_mul_f32_e32 v194, v22, v194                              // 000000005144: 0B858516
	v_mul_f32_e32 v195, v22, v195                              // 000000005148: 0B878716
	v_mul_f32_dpp v192, v12, v192 row_newbcast:8 row_mask:0xf bank_mask:0xf// 00000000514C: 0B8180FA FF01580C
	v_mul_f32_dpp v193, v12, v193 row_newbcast:9 row_mask:0xf bank_mask:0xf// 000000005154: 0B8382FA FF01590C
	v_mul_f32_dpp v194, v12, v194 row_newbcast:10 row_mask:0xf bank_mask:0xf// 00000000515C: 0B8584FA FF015A0C
	v_mul_f32_dpp v195, v12, v195 row_newbcast:11 row_mask:0xf bank_mask:0xf// 000000005164: 0B8786FA FF015B0C
	v_mul_f32_e32 v192, v17, v192                              // 00000000516C: 0B818111
	v_mul_f32_e32 v193, v17, v193                              // 000000005170: 0B838311
	v_mul_f32_e32 v194, v17, v194                              // 000000005174: 0B858511
	v_mul_f32_e32 v195, v17, v195                              // 000000005178: 0B878711
	v_cvt_f32_i32_e32 v196, v196                               // 00000000517C: 7F880BC4
	v_cvt_f32_i32_e32 v197, v197                               // 000000005180: 7F8A0BC5
	v_cvt_f32_i32_e32 v198, v198                               // 000000005184: 7F8C0BC6
	v_cvt_f32_i32_e32 v199, v199                               // 000000005188: 7F8E0BC7
	v_mul_f32_e32 v196, v23, v196                              // 00000000518C: 0B898917
	v_mul_f32_e32 v197, v23, v197                              // 000000005190: 0B8B8B17
	v_mul_f32_e32 v198, v23, v198                              // 000000005194: 0B8D8D17
	v_mul_f32_e32 v199, v23, v199                              // 000000005198: 0B8F8F17
	v_mul_f32_dpp v196, v12, v196 row_newbcast:8 row_mask:0xf bank_mask:0xf// 00000000519C: 0B8988FA FF01580C
	v_mul_f32_dpp v197, v12, v197 row_newbcast:9 row_mask:0xf bank_mask:0xf// 0000000051A4: 0B8B8AFA FF01590C
	v_mul_f32_dpp v198, v12, v198 row_newbcast:10 row_mask:0xf bank_mask:0xf// 0000000051AC: 0B8D8CFA FF015A0C
	v_mul_f32_dpp v199, v12, v199 row_newbcast:11 row_mask:0xf bank_mask:0xf// 0000000051B4: 0B8F8EFA FF015B0C
	v_mul_f32_e32 v196, v18, v196                              // 0000000051BC: 0B898912
	v_mul_f32_e32 v197, v18, v197                              // 0000000051C0: 0B8B8B12
	v_mul_f32_e32 v198, v18, v198                              // 0000000051C4: 0B8D8D12
	v_mul_f32_e32 v199, v18, v199                              // 0000000051C8: 0B8F8F12
	v_cvt_f32_i32_e32 v200, v200                               // 0000000051CC: 7F900BC8
	v_cvt_f32_i32_e32 v201, v201                               // 0000000051D0: 7F920BC9
	v_cvt_f32_i32_e32 v202, v202                               // 0000000051D4: 7F940BCA
	v_cvt_f32_i32_e32 v203, v203                               // 0000000051D8: 7F960BCB
	v_mul_f32_e32 v200, v22, v200                              // 0000000051DC: 0B919116
	v_mul_f32_e32 v201, v22, v201                              // 0000000051E0: 0B939316
	v_mul_f32_e32 v202, v22, v202                              // 0000000051E4: 0B959516
	v_mul_f32_e32 v203, v22, v203                              // 0000000051E8: 0B979716
	v_mul_f32_dpp v200, v12, v200 row_newbcast:12 row_mask:0xf bank_mask:0xf// 0000000051EC: 0B9190FA FF015C0C
	v_mul_f32_dpp v201, v12, v201 row_newbcast:13 row_mask:0xf bank_mask:0xf// 0000000051F4: 0B9392FA FF015D0C
	v_mul_f32_dpp v202, v12, v202 row_newbcast:14 row_mask:0xf bank_mask:0xf// 0000000051FC: 0B9594FA FF015E0C
	v_mul_f32_dpp v203, v12, v203 row_newbcast:15 row_mask:0xf bank_mask:0xf// 000000005204: 0B9796FA FF015F0C
	v_mul_f32_e32 v200, v17, v200                              // 00000000520C: 0B919111
	v_mul_f32_e32 v201, v17, v201                              // 000000005210: 0B939311
	v_mul_f32_e32 v202, v17, v202                              // 000000005214: 0B959511
	v_mul_f32_e32 v203, v17, v203                              // 000000005218: 0B979711
	v_cvt_f32_i32_e32 v204, v204                               // 00000000521C: 7F980BCC
	v_cvt_f32_i32_e32 v205, v205                               // 000000005220: 7F9A0BCD
	v_cvt_f32_i32_e32 v206, v206                               // 000000005224: 7F9C0BCE
	v_cvt_f32_i32_e32 v207, v207                               // 000000005228: 7F9E0BCF
	v_mul_f32_e32 v204, v23, v204                              // 00000000522C: 0B999917
	v_mul_f32_e32 v205, v23, v205                              // 000000005230: 0B9B9B17
	v_mul_f32_e32 v206, v23, v206                              // 000000005234: 0B9D9D17
	v_mul_f32_e32 v207, v23, v207                              // 000000005238: 0B9F9F17
	v_mul_f32_dpp v204, v12, v204 row_newbcast:12 row_mask:0xf bank_mask:0xf// 00000000523C: 0B9998FA FF015C0C
	v_mul_f32_dpp v205, v12, v205 row_newbcast:13 row_mask:0xf bank_mask:0xf// 000000005244: 0B9B9AFA FF015D0C
	v_mul_f32_dpp v206, v12, v206 row_newbcast:14 row_mask:0xf bank_mask:0xf// 00000000524C: 0B9D9CFA FF015E0C
	v_mul_f32_dpp v207, v12, v207 row_newbcast:15 row_mask:0xf bank_mask:0xf// 000000005254: 0B9F9EFA FF015F0C
	v_mul_f32_e32 v204, v18, v204                              // 00000000525C: 0B999912
	v_mul_f32_e32 v205, v18, v205                              // 000000005260: 0B9B9B12
	v_mul_f32_e32 v206, v18, v206                              // 000000005264: 0B9D9D12
	v_mul_f32_e32 v207, v18, v207                              // 000000005268: 0B9F9F12
	v_cvt_pkrtz_f16_f32 v176, v176, v177                       // 00000000526C: D29600B0 000363B0
	v_cvt_pkrtz_f16_f32 v177, v178, v179                       // 000000005274: D29600B1 000367B2
	v_cvt_pkrtz_f16_f32 v178, v180, v181                       // 00000000527C: D29600B2 00036BB4
	v_cvt_pkrtz_f16_f32 v179, v182, v183                       // 000000005284: D29600B3 00036FB6
	v_cvt_pkrtz_f16_f32 v180, v184, v185                       // 00000000528C: D29600B4 000373B8
	v_cvt_pkrtz_f16_f32 v181, v186, v187                       // 000000005294: D29600B5 000377BA
	v_cvt_pkrtz_f16_f32 v182, v188, v189                       // 00000000529C: D29600B6 00037BBC
	v_cvt_pkrtz_f16_f32 v183, v190, v191                       // 0000000052A4: D29600B7 00037FBE
	v_cvt_pkrtz_f16_f32 v184, v192, v193                       // 0000000052AC: D29600B8 000383C0
	v_cvt_pkrtz_f16_f32 v185, v194, v195                       // 0000000052B4: D29600B9 000387C2
	v_cvt_pkrtz_f16_f32 v186, v196, v197                       // 0000000052BC: D29600BA 00038BC4
	v_cvt_pkrtz_f16_f32 v187, v198, v199                       // 0000000052C4: D29600BB 00038FC6
	v_cvt_pkrtz_f16_f32 v188, v200, v201                       // 0000000052CC: D29600BC 000393C8
	v_cvt_pkrtz_f16_f32 v189, v202, v203                       // 0000000052D4: D29600BD 000397CA
	v_cvt_pkrtz_f16_f32 v190, v204, v205                       // 0000000052DC: D29600BE 00039BCC
	v_cvt_pkrtz_f16_f32 v191, v206, v207                       // 0000000052E4: D29600BF 00039FCE
	ds_write_b64 v3, v[176:177] offset:22784                   // 0000000052EC: D89A5900 0000B003
	ds_write_b64 v3, v[178:179] offset:31488                   // 0000000052F4: D89A7B00 0000B203
	ds_write_b64 v3, v[180:181] offset:24960                   // 0000000052FC: D89A6180 0000B403
	ds_write_b64 v3, v[182:183] offset:33664                   // 000000005304: D89A8380 0000B603
	ds_write_b64 v3, v[184:185] offset:27136                   // 00000000530C: D89A6A00 0000B803
	ds_write_b64 v3, v[186:187] offset:35840                   // 000000005314: D89A8C00 0000BA03
	ds_write_b64 v3, v[188:189] offset:29312                   // 00000000531C: D89A7280 0000BC03
	ds_write_b64 v3, v[190:191] offset:38016                   // 000000005324: D89A9480 0000BE03
	s_waitcnt lgkmcnt(0)                                       // 00000000532C: BF8CC07F
	s_barrier                                                  // 000000005330: BF8A0000
	ds_read_b32 v64, v4 offset:22784                           // 000000005334: D86C5900 40000004
	ds_read_b32 v65, v4 offset:27136                           // 00000000533C: D86C6A00 41000004
	ds_read_b32 v66, v4 offset:22816                           // 000000005344: D86C5920 42000004
	ds_read_b32 v67, v4 offset:27168                           // 00000000534C: D86C6A20 43000004
	ds_read_b32 v68, v4 offset:22848                           // 000000005354: D86C5940 44000004
	ds_read_b32 v69, v4 offset:27200                           // 00000000535C: D86C6A40 45000004
	ds_read_b32 v70, v4 offset:22880                           // 000000005364: D86C5960 46000004
	ds_read_b32 v71, v4 offset:27232                           // 00000000536C: D86C6A60 47000004
	ds_read_b32 v72, v4 offset:31488                           // 000000005374: D86C7B00 48000004
	ds_read_b32 v73, v4 offset:35840                           // 00000000537C: D86C8C00 49000004
	ds_read_b32 v74, v4 offset:31520                           // 000000005384: D86C7B20 4A000004
	ds_read_b32 v75, v4 offset:35872                           // 00000000538C: D86C8C20 4B000004
	ds_read_b32 v76, v4 offset:31552                           // 000000005394: D86C7B40 4C000004
	ds_read_b32 v77, v4 offset:35904                           // 00000000539C: D86C8C40 4D000004
	ds_read_b32 v78, v4 offset:31584                           // 0000000053A4: D86C7B60 4E000004
	ds_read_b32 v79, v4 offset:35936                           // 0000000053AC: D86C8C60 4F000004
	s_waitcnt lgkmcnt(0)                                       // 0000000053B4: BF8CC07F
	s_mov_b64 exec, s[20:21]                                   // 0000000053B8: BEFE0114
	global_atomic_pk_add_f16 v80, v64, s[8:9]                  // 0000000053BC: DD388000 00084050
	s_mov_b64 exec, s[36:37]                                   // 0000000053C4: BEFE0124
	s_mov_b64 exec, s[20:21]                                   // 0000000053C8: BEFE0114
	global_atomic_pk_add_f16 v80, v65, s[8:9] offset:256       // 0000000053CC: DD388100 00084150
	s_mov_b64 exec, s[36:37]                                   // 0000000053D4: BEFE0124
	s_mov_b64 exec, s[22:23]                                   // 0000000053D8: BEFE0116
	global_atomic_pk_add_f16 v82, v66, s[8:9]                  // 0000000053DC: DD388000 00084252
	s_mov_b64 exec, s[36:37]                                   // 0000000053E4: BEFE0124
	s_mov_b64 exec, s[22:23]                                   // 0000000053E8: BEFE0116
	global_atomic_pk_add_f16 v82, v67, s[8:9] offset:256       // 0000000053EC: DD388100 00084352
	s_mov_b64 exec, s[36:37]                                   // 0000000053F4: BEFE0124
	s_mov_b64 exec, s[24:25]                                   // 0000000053F8: BEFE0118
	global_atomic_pk_add_f16 v84, v68, s[8:9]                  // 0000000053FC: DD388000 00084454
	s_mov_b64 exec, s[36:37]                                   // 000000005404: BEFE0124
	s_mov_b64 exec, s[24:25]                                   // 000000005408: BEFE0118
	global_atomic_pk_add_f16 v84, v69, s[8:9] offset:256       // 00000000540C: DD388100 00084554
	s_mov_b64 exec, s[36:37]                                   // 000000005414: BEFE0124
	s_mov_b64 exec, s[26:27]                                   // 000000005418: BEFE011A
	global_atomic_pk_add_f16 v86, v70, s[8:9]                  // 00000000541C: DD388000 00084656
	s_mov_b64 exec, s[36:37]                                   // 000000005424: BEFE0124
	s_mov_b64 exec, s[26:27]                                   // 000000005428: BEFE011A
	global_atomic_pk_add_f16 v86, v71, s[8:9] offset:256       // 00000000542C: DD388100 00084756
	s_mov_b64 exec, s[36:37]                                   // 000000005434: BEFE0124
	s_mov_b64 exec, s[28:29]                                   // 000000005438: BEFE011C
	global_atomic_pk_add_f16 v88, v72, s[8:9]                  // 00000000543C: DD388000 00084858
	s_mov_b64 exec, s[36:37]                                   // 000000005444: BEFE0124
	s_mov_b64 exec, s[28:29]                                   // 000000005448: BEFE011C
	global_atomic_pk_add_f16 v88, v73, s[8:9] offset:256       // 00000000544C: DD388100 00084958
	s_mov_b64 exec, s[36:37]                                   // 000000005454: BEFE0124
	s_mov_b64 exec, s[30:31]                                   // 000000005458: BEFE011E
	global_atomic_pk_add_f16 v90, v74, s[8:9]                  // 00000000545C: DD388000 00084A5A
	s_mov_b64 exec, s[36:37]                                   // 000000005464: BEFE0124
	s_mov_b64 exec, s[30:31]                                   // 000000005468: BEFE011E
	global_atomic_pk_add_f16 v90, v75, s[8:9] offset:256       // 00000000546C: DD388100 00084B5A
	s_mov_b64 exec, s[36:37]                                   // 000000005474: BEFE0124
	s_mov_b64 exec, s[32:33]                                   // 000000005478: BEFE0120
	global_atomic_pk_add_f16 v92, v76, s[8:9]                  // 00000000547C: DD388000 00084C5C
	s_mov_b64 exec, s[36:37]                                   // 000000005484: BEFE0124
	s_mov_b64 exec, s[32:33]                                   // 000000005488: BEFE0120
	global_atomic_pk_add_f16 v92, v77, s[8:9] offset:256       // 00000000548C: DD388100 00084D5C
	s_mov_b64 exec, s[36:37]                                   // 000000005494: BEFE0124
	s_mov_b64 exec, s[34:35]                                   // 000000005498: BEFE0122
	global_atomic_pk_add_f16 v94, v78, s[8:9]                  // 00000000549C: DD388000 00084E5E
	s_mov_b64 exec, s[36:37]                                   // 0000000054A4: BEFE0124
	s_mov_b64 exec, s[34:35]                                   // 0000000054A8: BEFE0122
	global_atomic_pk_add_f16 v94, v79, s[8:9] offset:256       // 0000000054AC: DD388100 00084F5E
	s_mov_b64 exec, s[36:37]                                   // 0000000054B4: BEFE0124
	s_add_u32 s8, s59, s8                                      // 0000000054B8: 8008083B
	s_addc_u32 s9, 0, s9                                       // 0000000054BC: 82090980
	s_addk_i32 s80, 0x100                                      // 0000000054C0: B7500100
	s_cmp_lt_i32 s80, s81                                      // 0000000054C4: BF045150
	s_cbranch_scc0 label_09B4                                  // 0000000054C8: BF840001
	s_branch label_0681                                        // 0000000054CC: BF82FCCD

00000000000054d0 <label_09B4>:
	s_nop 0                                                    // 0000000054D0: BF800000
	s_nop 0                                                    // 0000000054D4: BF800000
	s_branch label_112F                                        // 0000000054D8: BF820778

00000000000054dc <label_09B7>:
	s_waitcnt vmcnt(0) lgkmcnt(0)                              // 0000000054DC: BF8C0070
	s_barrier                                                  // 0000000054E0: BF8A0000
	v_mfma_i32_16x16x32_i8 v[128:131], a[0:1], v[144:145], v[128:131]// 0000000054E4: D3D70080 0E032100
	buffer_load_dwordx4 a[32:35], v32, s[92:95], 0 offen       // 0000000054EC: E05C1000 80972020
	v_mfma_i32_16x16x32_i8 v[128:131], a[2:3], v[146:147], v[128:131]// 0000000054F4: D3D70080 0E032502
	v_mfma_i32_16x16x32_i8 v[128:131], a[4:5], v[148:149], v[128:131]// 0000000054FC: D3D70080 0E032904
	buffer_load_dword v24, s[20:23], 0 offen lds               // 000000005504: E0511000 80050018
	s_add_u32 m0, 0x100, s51                                   // 00000000550C: 807C33FF 00000100
	v_mfma_i32_16x16x32_i8 v[128:131], a[6:7], v[150:151], v[128:131]// 000000005514: D3D70080 0E032D06
	v_mfma_i32_16x16x32_i8 v[128:131], a[8:9], v[152:153], v[128:131]// 00000000551C: D3D70080 0E033108
	buffer_load_dwordx4 a[36:39], v32, s[92:95], 0 offen offset:1024// 000000005524: E05C1400 80972420
	v_mfma_i32_16x16x32_i8 v[128:131], a[10:11], v[154:155], v[128:131]// 00000000552C: D3D70080 0E03350A
	v_mfma_i32_16x16x32_i8 v[128:131], a[12:13], v[156:157], v[128:131]// 000000005534: D3D70080 0E03390C
	buffer_load_dword v25, s[20:23], 0 offen lds               // 00000000553C: E0511000 80050019
	s_add_u32 m0, 0x200, s51                                   // 000000005544: 807C33FF 00000200
	v_mfma_i32_16x16x32_i8 v[128:131], a[14:15], v[158:159], v[128:131]// 00000000554C: D3D70080 0E033D0E
	v_mfma_i32_16x16x32_i8 v[132:135], a[0:1], v[160:161], v[132:135]// 000000005554: D3D70084 0E134100
	buffer_load_dwordx4 a[40:43], v32, s[92:95], 0 offen offset:2048// 00000000555C: E05C1800 80972820
	v_mfma_i32_16x16x32_i8 v[132:135], a[2:3], v[162:163], v[132:135]// 000000005564: D3D70084 0E134502
	v_mfma_i32_16x16x32_i8 v[132:135], a[4:5], v[164:165], v[132:135]// 00000000556C: D3D70084 0E134904
	buffer_load_dword v26, s[20:23], 0 offen lds               // 000000005574: E0511000 8005001A
	s_add_u32 m0, 0x300, s51                                   // 00000000557C: 807C33FF 00000300
	v_mfma_i32_16x16x32_i8 v[132:135], a[6:7], v[166:167], v[132:135]// 000000005584: D3D70084 0E134D06
	v_mfma_i32_16x16x32_i8 v[132:135], a[8:9], v[168:169], v[132:135]// 00000000558C: D3D70084 0E135108
	buffer_load_dwordx4 a[44:47], v32, s[92:95], 0 offen offset:3072// 000000005594: E05C1C00 80972C20
	v_mfma_i32_16x16x32_i8 v[132:135], a[10:11], v[170:171], v[132:135]// 00000000559C: D3D70084 0E13550A
	v_mfma_i32_16x16x32_i8 v[132:135], a[12:13], v[172:173], v[132:135]// 0000000055A4: D3D70084 0E13590C
	buffer_load_dword v27, s[20:23], 0 offen lds               // 0000000055AC: E0511000 8005001B
	s_add_u32 m0, 0x400, s51                                   // 0000000055B4: 807C33FF 00000400
	v_mfma_i32_16x16x32_i8 v[132:135], a[14:15], v[174:175], v[132:135]// 0000000055BC: D3D70084 0E135D0E
	v_mfma_i32_16x16x32_i8 v[136:139], a[16:17], v[144:145], v[136:139]// 0000000055C4: D3D70088 0E232110
	buffer_load_dwordx4 a[48:51], v33, s[92:95], 0 offen       // 0000000055CC: E05C1000 80973021
	v_mfma_i32_16x16x32_i8 v[136:139], a[18:19], v[146:147], v[136:139]// 0000000055D4: D3D70088 0E232512
	v_mfma_i32_16x16x32_i8 v[136:139], a[20:21], v[148:149], v[136:139]// 0000000055DC: D3D70088 0E232914
	buffer_load_dword v28, s[20:23], 0 offen lds               // 0000000055E4: E0511000 8005001C
	s_add_u32 m0, 0x500, s51                                   // 0000000055EC: 807C33FF 00000500
	v_mfma_i32_16x16x32_i8 v[136:139], a[22:23], v[150:151], v[136:139]// 0000000055F4: D3D70088 0E232D16
	v_mfma_i32_16x16x32_i8 v[136:139], a[24:25], v[152:153], v[136:139]// 0000000055FC: D3D70088 0E233118
	buffer_load_dwordx4 a[52:55], v33, s[92:95], 0 offen offset:1024// 000000005604: E05C1400 80973421
	v_mfma_i32_16x16x32_i8 v[136:139], a[26:27], v[154:155], v[136:139]// 00000000560C: D3D70088 0E23351A
	v_mfma_i32_16x16x32_i8 v[136:139], a[28:29], v[156:157], v[136:139]// 000000005614: D3D70088 0E23391C
	buffer_load_dword v29, s[20:23], 0 offen lds               // 00000000561C: E0511000 8005001D
	s_add_u32 m0, 0x600, s51                                   // 000000005624: 807C33FF 00000600
	v_mfma_i32_16x16x32_i8 v[136:139], a[30:31], v[158:159], v[136:139]// 00000000562C: D3D70088 0E233D1E
	v_mfma_i32_16x16x32_i8 v[140:143], a[16:17], v[160:161], v[140:143]// 000000005634: D3D7008C 0E334110
	buffer_load_dwordx4 a[56:59], v33, s[92:95], 0 offen offset:2048// 00000000563C: E05C1800 80973821
	v_mfma_i32_16x16x32_i8 v[140:143], a[18:19], v[162:163], v[140:143]// 000000005644: D3D7008C 0E334512
	v_mfma_i32_16x16x32_i8 v[140:143], a[20:21], v[164:165], v[140:143]// 00000000564C: D3D7008C 0E334914
	buffer_load_dword v30, s[20:23], 0 offen lds               // 000000005654: E0511000 8005001E
	s_add_u32 m0, 0x700, s51                                   // 00000000565C: 807C33FF 00000700
	v_mfma_i32_16x16x32_i8 v[140:143], a[22:23], v[166:167], v[140:143]// 000000005664: D3D7008C 0E334D16
	v_mfma_i32_16x16x32_i8 v[140:143], a[24:25], v[168:169], v[140:143]// 00000000566C: D3D7008C 0E335118
	buffer_load_dwordx4 a[60:63], v33, s[92:95], 0 offen offset:3072// 000000005674: E05C1C00 80973C21
	v_mfma_i32_16x16x32_i8 v[140:143], a[26:27], v[170:171], v[140:143]// 00000000567C: D3D7008C 0E33551A
	v_mfma_i32_16x16x32_i8 v[140:143], a[28:29], v[172:173], v[140:143]// 000000005684: D3D7008C 0E33591C
	buffer_load_dword v31, s[20:23], 0 offen lds               // 00000000568C: E0511000 8005001F
	s_add_u32 m0, 0, s50                                       // 000000005694: 807C3280
	v_mfma_i32_16x16x32_i8 v[140:143], a[30:31], v[174:175], v[140:143]// 000000005698: D3D7008C 0E335D1E
	s_waitcnt vmcnt(0)                                         // 0000000056A0: BF8C0F70
	s_barrier                                                  // 0000000056A4: BF8A0000
	v_mfma_i32_16x16x32_i8 v[64:67], a[32:33], v[144:145], v[64:67]// 0000000056A8: D3D70040 0D032120
	buffer_load_dwordx4 a[0:3], v32, s[24:27], 0 offen         // 0000000056B0: E05C1000 80860020
	v_mfma_i32_16x16x32_i8 v[64:67], a[34:35], v[146:147], v[64:67]// 0000000056B8: D3D70040 0D032522
	v_mfma_i32_16x16x32_i8 v[64:67], a[36:37], v[148:149], v[64:67]// 0000000056C0: D3D70040 0D032924
	ds_read_b128 v[176:179], v2 offset:8320                    // 0000000056C8: D9FE2080 B0000002
	v_mfma_i32_16x16x32_i8 v[64:67], a[38:39], v[150:151], v[64:67]// 0000000056D0: D3D70040 0D032D26
	v_mfma_i32_16x16x32_i8 v[64:67], a[40:41], v[152:153], v[64:67]// 0000000056D8: D3D70040 0D033128
	buffer_load_dwordx4 a[4:7], v32, s[24:27], 0 offen offset:1024// 0000000056E0: E05C1400 80860420
	v_mfma_i32_16x16x32_i8 v[64:67], a[42:43], v[154:155], v[64:67]// 0000000056E8: D3D70040 0D03352A
	v_mfma_i32_16x16x32_i8 v[64:67], a[44:45], v[156:157], v[64:67]// 0000000056F0: D3D70040 0D03392C
	ds_read_b128 v[180:183], v2 offset:8384                    // 0000000056F8: D9FE20C0 B4000002
	v_mfma_i32_16x16x32_i8 v[64:67], a[46:47], v[158:159], v[64:67]// 000000005700: D3D70040 0D033D2E
	v_mfma_i32_16x16x32_i8 v[68:71], a[32:33], v[160:161], v[68:71]// 000000005708: D3D70044 0D134120
	buffer_load_dwordx4 a[8:11], v32, s[24:27], 0 offen offset:2048// 000000005710: E05C1800 80860820
	v_mfma_i32_16x16x32_i8 v[68:71], a[34:35], v[162:163], v[68:71]// 000000005718: D3D70044 0D134522
	v_mfma_i32_16x16x32_i8 v[68:71], a[36:37], v[164:165], v[68:71]// 000000005720: D3D70044 0D134924
	ds_read_b128 v[184:187], v2 offset:8448                    // 000000005728: D9FE2100 B8000002
	v_mfma_i32_16x16x32_i8 v[68:71], a[38:39], v[166:167], v[68:71]// 000000005730: D3D70044 0D134D26
	v_mfma_i32_16x16x32_i8 v[68:71], a[40:41], v[168:169], v[68:71]// 000000005738: D3D70044 0D135128
	buffer_load_dwordx4 a[12:15], v32, s[24:27], 0 offen offset:3072// 000000005740: E05C1C00 80860C20
	v_mfma_i32_16x16x32_i8 v[68:71], a[42:43], v[170:171], v[68:71]// 000000005748: D3D70044 0D13552A
	v_mfma_i32_16x16x32_i8 v[68:71], a[44:45], v[172:173], v[68:71]// 000000005750: D3D70044 0D13592C
	ds_read_b128 v[188:191], v2 offset:8512                    // 000000005758: D9FE2140 BC000002
	v_mfma_i32_16x16x32_i8 v[68:71], a[46:47], v[174:175], v[68:71]// 000000005760: D3D70044 0D135D2E
	v_mfma_i32_16x16x32_i8 v[72:75], a[48:49], v[144:145], v[72:75]// 000000005768: D3D70048 0D232130
	buffer_load_dwordx4 a[16:19], v33, s[24:27], 0 offen       // 000000005770: E05C1000 80861021
	v_mfma_i32_16x16x32_i8 v[72:75], a[50:51], v[146:147], v[72:75]// 000000005778: D3D70048 0D232532
	v_mfma_i32_16x16x32_i8 v[72:75], a[52:53], v[148:149], v[72:75]// 000000005780: D3D70048 0D232934
	ds_read_b128 v[192:195], v2 offset:9344                    // 000000005788: D9FE2480 C0000002
	v_mfma_i32_16x16x32_i8 v[72:75], a[54:55], v[150:151], v[72:75]// 000000005790: D3D70048 0D232D36
	v_mfma_i32_16x16x32_i8 v[72:75], a[56:57], v[152:153], v[72:75]// 000000005798: D3D70048 0D233138
	buffer_load_dwordx4 a[20:23], v33, s[24:27], 0 offen offset:1024// 0000000057A0: E05C1400 80861421
	v_mfma_i32_16x16x32_i8 v[72:75], a[58:59], v[154:155], v[72:75]// 0000000057A8: D3D70048 0D23353A
	v_mfma_i32_16x16x32_i8 v[72:75], a[60:61], v[156:157], v[72:75]// 0000000057B0: D3D70048 0D23393C
	ds_read_b128 v[196:199], v2 offset:9408                    // 0000000057B8: D9FE24C0 C4000002
	v_mfma_i32_16x16x32_i8 v[72:75], a[62:63], v[158:159], v[72:75]// 0000000057C0: D3D70048 0D233D3E
	v_mfma_i32_16x16x32_i8 v[76:79], a[48:49], v[160:161], v[76:79]// 0000000057C8: D3D7004C 0D334130
	buffer_load_dwordx4 a[24:27], v33, s[24:27], 0 offen offset:2048// 0000000057D0: E05C1800 80861821
	v_mfma_i32_16x16x32_i8 v[76:79], a[50:51], v[162:163], v[76:79]// 0000000057D8: D3D7004C 0D334532
	v_mfma_i32_16x16x32_i8 v[76:79], a[52:53], v[164:165], v[76:79]// 0000000057E0: D3D7004C 0D334934
	ds_read_b128 v[200:203], v2 offset:9472                    // 0000000057E8: D9FE2500 C8000002
	v_mfma_i32_16x16x32_i8 v[76:79], a[54:55], v[166:167], v[76:79]// 0000000057F0: D3D7004C 0D334D36
	v_mfma_i32_16x16x32_i8 v[76:79], a[56:57], v[168:169], v[76:79]// 0000000057F8: D3D7004C 0D335138
	buffer_load_dwordx4 a[28:31], v33, s[24:27], 0 offen offset:3072// 000000005800: E05C1C00 80861C21
	v_mfma_i32_16x16x32_i8 v[76:79], a[58:59], v[170:171], v[76:79]// 000000005808: D3D7004C 0D33553A
	v_mfma_i32_16x16x32_i8 v[76:79], a[60:61], v[172:173], v[76:79]// 000000005810: D3D7004C 0D33593C
	ds_read_b128 v[204:207], v2 offset:9536                    // 000000005818: D9FE2540 CC000002
	v_mfma_i32_16x16x32_i8 v[76:79], a[62:63], v[174:175], v[76:79]// 000000005820: D3D7004C 0D335D3E
	s_add_u32 s60, 0x200, s80                                  // 000000005828: 803C50FF 00000200
	s_cmp_lt_u32 s60, s81                                      // 000000005830: BF0A513C
	s_cselect_b32 s57, s57, 0                                  // 000000005834: 85398039
	s_add_u32 s60, 0x200, s80                                  // 000000005838: 803C50FF 00000200
	s_cmp_lt_u32 s60, s81                                      // 000000005840: BF0A513C
	s_cselect_b32 s58, s58, 0                                  // 000000005844: 853A803A
	s_add_u32 s20, s57, s20                                    // 000000005848: 80141439
	s_addc_u32 s21, 0, s21                                     // 00000000584C: 82151580
	s_add_u32 s24, s58, s24                                    // 000000005850: 8018183A
	s_addc_u32 s25, 0, s25                                     // 000000005854: 82191980
	s_add_u32 s92, s90, s92                                    // 000000005858: 805C5C5A
	s_addc_u32 s93, 0, s93                                     // 00000000585C: 825D5D80
	s_addk_i32 s80, 0x100                                      // 000000005860: B7500100
	s_cmp_lt_i32 s80, s81                                      // 000000005864: BF045150
	s_cbranch_scc0 label_0B80                                  // 000000005868: BF8400E5
	s_waitcnt vmcnt(0) lgkmcnt(0)                              // 00000000586C: BF8C0070
	s_barrier                                                  // 000000005870: BF8A0000
	v_mfma_i32_16x16x32_i8 v[128:131], a[0:1], v[176:177], v[128:131]// 000000005874: D3D70080 0E036100
	buffer_load_dwordx4 a[32:35], v32, s[92:95], 0 offen       // 00000000587C: E05C1000 80972020
	v_mfma_i32_16x16x32_i8 v[128:131], a[2:3], v[178:179], v[128:131]// 000000005884: D3D70080 0E036502
	v_mfma_i32_16x16x32_i8 v[128:131], a[4:5], v[180:181], v[128:131]// 00000000588C: D3D70080 0E036904
	buffer_load_dword v24, s[20:23], 0 offen lds               // 000000005894: E0511000 80050018
	s_add_u32 m0, 0x100, s50                                   // 00000000589C: 807C32FF 00000100
	v_mfma_i32_16x16x32_i8 v[128:131], a[6:7], v[182:183], v[128:131]// 0000000058A4: D3D70080 0E036D06
	v_mfma_i32_16x16x32_i8 v[128:131], a[8:9], v[184:185], v[128:131]// 0000000058AC: D3D70080 0E037108
	buffer_load_dwordx4 a[36:39], v32, s[92:95], 0 offen offset:1024// 0000000058B4: E05C1400 80972420
	v_mfma_i32_16x16x32_i8 v[128:131], a[10:11], v[186:187], v[128:131]// 0000000058BC: D3D70080 0E03750A
	v_mfma_i32_16x16x32_i8 v[128:131], a[12:13], v[188:189], v[128:131]// 0000000058C4: D3D70080 0E03790C
	buffer_load_dword v25, s[20:23], 0 offen lds               // 0000000058CC: E0511000 80050019
	s_add_u32 m0, 0x200, s50                                   // 0000000058D4: 807C32FF 00000200
	v_mfma_i32_16x16x32_i8 v[128:131], a[14:15], v[190:191], v[128:131]// 0000000058DC: D3D70080 0E037D0E
	v_mfma_i32_16x16x32_i8 v[132:135], a[0:1], v[192:193], v[132:135]// 0000000058E4: D3D70084 0E138100
	buffer_load_dwordx4 a[40:43], v32, s[92:95], 0 offen offset:2048// 0000000058EC: E05C1800 80972820
	v_mfma_i32_16x16x32_i8 v[132:135], a[2:3], v[194:195], v[132:135]// 0000000058F4: D3D70084 0E138502
	v_mfma_i32_16x16x32_i8 v[132:135], a[4:5], v[196:197], v[132:135]// 0000000058FC: D3D70084 0E138904
	buffer_load_dword v26, s[20:23], 0 offen lds               // 000000005904: E0511000 8005001A
	s_add_u32 m0, 0x300, s50                                   // 00000000590C: 807C32FF 00000300
	v_mfma_i32_16x16x32_i8 v[132:135], a[6:7], v[198:199], v[132:135]// 000000005914: D3D70084 0E138D06
	v_mfma_i32_16x16x32_i8 v[132:135], a[8:9], v[200:201], v[132:135]// 00000000591C: D3D70084 0E139108
	buffer_load_dwordx4 a[44:47], v32, s[92:95], 0 offen offset:3072// 000000005924: E05C1C00 80972C20
	v_mfma_i32_16x16x32_i8 v[132:135], a[10:11], v[202:203], v[132:135]// 00000000592C: D3D70084 0E13950A
	v_mfma_i32_16x16x32_i8 v[132:135], a[12:13], v[204:205], v[132:135]// 000000005934: D3D70084 0E13990C
	buffer_load_dword v27, s[20:23], 0 offen lds               // 00000000593C: E0511000 8005001B
	s_add_u32 m0, 0x400, s50                                   // 000000005944: 807C32FF 00000400
	v_mfma_i32_16x16x32_i8 v[132:135], a[14:15], v[206:207], v[132:135]// 00000000594C: D3D70084 0E139D0E
	v_mfma_i32_16x16x32_i8 v[136:139], a[16:17], v[176:177], v[136:139]// 000000005954: D3D70088 0E236110
	buffer_load_dwordx4 a[48:51], v33, s[92:95], 0 offen       // 00000000595C: E05C1000 80973021
	v_mfma_i32_16x16x32_i8 v[136:139], a[18:19], v[178:179], v[136:139]// 000000005964: D3D70088 0E236512
	v_mfma_i32_16x16x32_i8 v[136:139], a[20:21], v[180:181], v[136:139]// 00000000596C: D3D70088 0E236914
	buffer_load_dword v28, s[20:23], 0 offen lds               // 000000005974: E0511000 8005001C
	s_add_u32 m0, 0x500, s50                                   // 00000000597C: 807C32FF 00000500
	v_mfma_i32_16x16x32_i8 v[136:139], a[22:23], v[182:183], v[136:139]// 000000005984: D3D70088 0E236D16
	v_mfma_i32_16x16x32_i8 v[136:139], a[24:25], v[184:185], v[136:139]// 00000000598C: D3D70088 0E237118
	buffer_load_dwordx4 a[52:55], v33, s[92:95], 0 offen offset:1024// 000000005994: E05C1400 80973421
	v_mfma_i32_16x16x32_i8 v[136:139], a[26:27], v[186:187], v[136:139]// 00000000599C: D3D70088 0E23751A
	v_mfma_i32_16x16x32_i8 v[136:139], a[28:29], v[188:189], v[136:139]// 0000000059A4: D3D70088 0E23791C
	buffer_load_dword v29, s[20:23], 0 offen lds               // 0000000059AC: E0511000 8005001D
	s_add_u32 m0, 0x600, s50                                   // 0000000059B4: 807C32FF 00000600
	v_mfma_i32_16x16x32_i8 v[136:139], a[30:31], v[190:191], v[136:139]// 0000000059BC: D3D70088 0E237D1E
	v_mfma_i32_16x16x32_i8 v[140:143], a[16:17], v[192:193], v[140:143]// 0000000059C4: D3D7008C 0E338110
	buffer_load_dwordx4 a[56:59], v33, s[92:95], 0 offen offset:2048// 0000000059CC: E05C1800 80973821
	v_mfma_i32_16x16x32_i8 v[140:143], a[18:19], v[194:195], v[140:143]// 0000000059D4: D3D7008C 0E338512
	v_mfma_i32_16x16x32_i8 v[140:143], a[20:21], v[196:197], v[140:143]// 0000000059DC: D3D7008C 0E338914
	buffer_load_dword v30, s[20:23], 0 offen lds               // 0000000059E4: E0511000 8005001E
	s_add_u32 m0, 0x700, s50                                   // 0000000059EC: 807C32FF 00000700
	v_mfma_i32_16x16x32_i8 v[140:143], a[22:23], v[198:199], v[140:143]// 0000000059F4: D3D7008C 0E338D16
	v_mfma_i32_16x16x32_i8 v[140:143], a[24:25], v[200:201], v[140:143]// 0000000059FC: D3D7008C 0E339118
	buffer_load_dwordx4 a[60:63], v33, s[92:95], 0 offen offset:3072// 000000005A04: E05C1C00 80973C21
	v_mfma_i32_16x16x32_i8 v[140:143], a[26:27], v[202:203], v[140:143]// 000000005A0C: D3D7008C 0E33951A
	v_mfma_i32_16x16x32_i8 v[140:143], a[28:29], v[204:205], v[140:143]// 000000005A14: D3D7008C 0E33991C
	buffer_load_dword v31, s[20:23], 0 offen lds               // 000000005A1C: E0511000 8005001F
	s_add_u32 m0, 0, s51                                       // 000000005A24: 807C3380
	v_mfma_i32_16x16x32_i8 v[140:143], a[30:31], v[206:207], v[140:143]// 000000005A28: D3D7008C 0E339D1E
	s_waitcnt vmcnt(0)                                         // 000000005A30: BF8C0F70
	s_barrier                                                  // 000000005A34: BF8A0000
	v_mfma_i32_16x16x32_i8 v[64:67], a[32:33], v[176:177], v[64:67]// 000000005A38: D3D70040 0D036120
	buffer_load_dwordx4 a[0:3], v32, s[24:27], 0 offen         // 000000005A40: E05C1000 80860020
	v_mfma_i32_16x16x32_i8 v[64:67], a[34:35], v[178:179], v[64:67]// 000000005A48: D3D70040 0D036522
	v_mfma_i32_16x16x32_i8 v[64:67], a[36:37], v[180:181], v[64:67]// 000000005A50: D3D70040 0D036924
	ds_read_b128 v[144:147], v2                                // 000000005A58: D9FE0000 90000002
	v_mfma_i32_16x16x32_i8 v[64:67], a[38:39], v[182:183], v[64:67]// 000000005A60: D3D70040 0D036D26
	v_mfma_i32_16x16x32_i8 v[64:67], a[40:41], v[184:185], v[64:67]// 000000005A68: D3D70040 0D037128
	buffer_load_dwordx4 a[4:7], v32, s[24:27], 0 offen offset:1024// 000000005A70: E05C1400 80860420
	v_mfma_i32_16x16x32_i8 v[64:67], a[42:43], v[186:187], v[64:67]// 000000005A78: D3D70040 0D03752A
	v_mfma_i32_16x16x32_i8 v[64:67], a[44:45], v[188:189], v[64:67]// 000000005A80: D3D70040 0D03792C
	ds_read_b128 v[148:151], v2 offset:64                      // 000000005A88: D9FE0040 94000002
	v_mfma_i32_16x16x32_i8 v[64:67], a[46:47], v[190:191], v[64:67]// 000000005A90: D3D70040 0D037D2E
	v_mfma_i32_16x16x32_i8 v[68:71], a[32:33], v[192:193], v[68:71]// 000000005A98: D3D70044 0D138120
	buffer_load_dwordx4 a[8:11], v32, s[24:27], 0 offen offset:2048// 000000005AA0: E05C1800 80860820
	v_mfma_i32_16x16x32_i8 v[68:71], a[34:35], v[194:195], v[68:71]// 000000005AA8: D3D70044 0D138522
	v_mfma_i32_16x16x32_i8 v[68:71], a[36:37], v[196:197], v[68:71]// 000000005AB0: D3D70044 0D138924
	ds_read_b128 v[152:155], v2 offset:128                     // 000000005AB8: D9FE0080 98000002
	v_mfma_i32_16x16x32_i8 v[68:71], a[38:39], v[198:199], v[68:71]// 000000005AC0: D3D70044 0D138D26
	v_mfma_i32_16x16x32_i8 v[68:71], a[40:41], v[200:201], v[68:71]// 000000005AC8: D3D70044 0D139128
	buffer_load_dwordx4 a[12:15], v32, s[24:27], 0 offen offset:3072// 000000005AD0: E05C1C00 80860C20
	v_mfma_i32_16x16x32_i8 v[68:71], a[42:43], v[202:203], v[68:71]// 000000005AD8: D3D70044 0D13952A
	v_mfma_i32_16x16x32_i8 v[68:71], a[44:45], v[204:205], v[68:71]// 000000005AE0: D3D70044 0D13992C
	ds_read_b128 v[156:159], v2 offset:192                     // 000000005AE8: D9FE00C0 9C000002
	v_mfma_i32_16x16x32_i8 v[68:71], a[46:47], v[206:207], v[68:71]// 000000005AF0: D3D70044 0D139D2E
	v_mfma_i32_16x16x32_i8 v[72:75], a[48:49], v[176:177], v[72:75]// 000000005AF8: D3D70048 0D236130
	buffer_load_dwordx4 a[16:19], v33, s[24:27], 0 offen       // 000000005B00: E05C1000 80861021
	v_mfma_i32_16x16x32_i8 v[72:75], a[50:51], v[178:179], v[72:75]// 000000005B08: D3D70048 0D236532
	v_mfma_i32_16x16x32_i8 v[72:75], a[52:53], v[180:181], v[72:75]// 000000005B10: D3D70048 0D236934
	ds_read_b128 v[160:163], v2 offset:1024                    // 000000005B18: D9FE0400 A0000002
	v_mfma_i32_16x16x32_i8 v[72:75], a[54:55], v[182:183], v[72:75]// 000000005B20: D3D70048 0D236D36
	v_mfma_i32_16x16x32_i8 v[72:75], a[56:57], v[184:185], v[72:75]// 000000005B28: D3D70048 0D237138
	buffer_load_dwordx4 a[20:23], v33, s[24:27], 0 offen offset:1024// 000000005B30: E05C1400 80861421
	v_mfma_i32_16x16x32_i8 v[72:75], a[58:59], v[186:187], v[72:75]// 000000005B38: D3D70048 0D23753A
	v_mfma_i32_16x16x32_i8 v[72:75], a[60:61], v[188:189], v[72:75]// 000000005B40: D3D70048 0D23793C
	ds_read_b128 v[164:167], v2 offset:1088                    // 000000005B48: D9FE0440 A4000002
	v_mfma_i32_16x16x32_i8 v[72:75], a[62:63], v[190:191], v[72:75]// 000000005B50: D3D70048 0D237D3E
	v_mfma_i32_16x16x32_i8 v[76:79], a[48:49], v[192:193], v[76:79]// 000000005B58: D3D7004C 0D338130
	buffer_load_dwordx4 a[24:27], v33, s[24:27], 0 offen offset:2048// 000000005B60: E05C1800 80861821
	v_mfma_i32_16x16x32_i8 v[76:79], a[50:51], v[194:195], v[76:79]// 000000005B68: D3D7004C 0D338532
	v_mfma_i32_16x16x32_i8 v[76:79], a[52:53], v[196:197], v[76:79]// 000000005B70: D3D7004C 0D338934
	ds_read_b128 v[168:171], v2 offset:1152                    // 000000005B78: D9FE0480 A8000002
	v_mfma_i32_16x16x32_i8 v[76:79], a[54:55], v[198:199], v[76:79]// 000000005B80: D3D7004C 0D338D36
	v_mfma_i32_16x16x32_i8 v[76:79], a[56:57], v[200:201], v[76:79]// 000000005B88: D3D7004C 0D339138
	buffer_load_dwordx4 a[28:31], v33, s[24:27], 0 offen offset:3072// 000000005B90: E05C1C00 80861C21
	v_mfma_i32_16x16x32_i8 v[76:79], a[58:59], v[202:203], v[76:79]// 000000005B98: D3D7004C 0D33953A
	v_mfma_i32_16x16x32_i8 v[76:79], a[60:61], v[204:205], v[76:79]// 000000005BA0: D3D7004C 0D33993C
	ds_read_b128 v[172:175], v2 offset:1216                    // 000000005BA8: D9FE04C0 AC000002
	v_mfma_i32_16x16x32_i8 v[76:79], a[62:63], v[206:207], v[76:79]// 000000005BB0: D3D7004C 0D339D3E
	s_add_u32 s60, 0x200, s80                                  // 000000005BB8: 803C50FF 00000200
	s_cmp_lt_u32 s60, s81                                      // 000000005BC0: BF0A513C
	s_cselect_b32 s57, s57, 0                                  // 000000005BC4: 85398039
	s_add_u32 s60, 0x200, s80                                  // 000000005BC8: 803C50FF 00000200
	s_cmp_lt_u32 s60, s81                                      // 000000005BD0: BF0A513C
	s_cselect_b32 s58, s58, 0                                  // 000000005BD4: 853A803A
	s_add_u32 s20, s57, s20                                    // 000000005BD8: 80141439
	s_addc_u32 s21, 0, s21                                     // 000000005BDC: 82151580
	s_add_u32 s24, s58, s24                                    // 000000005BE0: 8018183A
	s_addc_u32 s25, 0, s25                                     // 000000005BE4: 82191980
	s_add_u32 s92, s90, s92                                    // 000000005BE8: 805C5C5A
	s_addc_u32 s93, 0, s93                                     // 000000005BEC: 825D5D80
	s_addk_i32 s80, 0x100                                      // 000000005BF0: B7500100
	s_cmp_lt_i32 s80, s81                                      // 000000005BF4: BF045150
	s_cbranch_scc0 label_0B80                                  // 000000005BF8: BF840001
	s_branch label_09B7                                        // 000000005BFC: BF82FE37

0000000000005c00 <label_0B80>:
	s_mov_b32 s36, -1                                          // 000000005C00: BEA400C1
	s_mov_b32 s37, -1                                          // 000000005C04: BEA500C1
	s_mov_b64 s[60:61], 0                                      // 000000005C08: BEBC0180
	s_cmp_lt_u32 s82, s66                                      // 000000005C0C: BF0A4252
	s_cselect_b64 s[20:21], s[36:37], s[60:61]                 // 000000005C10: 85943C24
	s_cmp_lt_u32 s83, s66                                      // 000000005C14: BF0A4253
	s_cselect_b64 s[22:23], s[36:37], s[60:61]                 // 000000005C18: 85963C24
	s_cmp_lt_u32 s84, s66                                      // 000000005C1C: BF0A4254
	s_cselect_b64 s[24:25], s[36:37], s[60:61]                 // 000000005C20: 85983C24
	s_cmp_lt_u32 s85, s66                                      // 000000005C24: BF0A4255
	s_cselect_b64 s[26:27], s[36:37], s[60:61]                 // 000000005C28: 859A3C24
	s_cmp_lt_u32 s86, s66                                      // 000000005C2C: BF0A4256
	s_cselect_b64 s[28:29], s[36:37], s[60:61]                 // 000000005C30: 859C3C24
	s_cmp_lt_u32 s87, s66                                      // 000000005C34: BF0A4257
	s_cselect_b64 s[30:31], s[36:37], s[60:61]                 // 000000005C38: 859E3C24
	s_cmp_lt_u32 s88, s66                                      // 000000005C3C: BF0A4258
	s_cselect_b64 s[32:33], s[36:37], s[60:61]                 // 000000005C40: 85A03C24
	s_cmp_lt_u32 s89, s66                                      // 000000005C44: BF0A4259
	s_cselect_b64 s[34:35], s[36:37], s[60:61]                 // 000000005C48: 85A23C24
	v_cvt_f32_i32_e32 v128, v128                               // 000000005C4C: 7F000B80
	v_cvt_f32_i32_e32 v129, v129                               // 000000005C50: 7F020B81
	v_cvt_f32_i32_e32 v130, v130                               // 000000005C54: 7F040B82
	v_cvt_f32_i32_e32 v131, v131                               // 000000005C58: 7F060B83
	v_mul_f32_e32 v128, v13, v128                              // 000000005C5C: 0B01010D
	v_mul_f32_e32 v129, v13, v129                              // 000000005C60: 0B03030D
	v_mul_f32_e32 v130, v13, v130                              // 000000005C64: 0B05050D
	v_mul_f32_e32 v131, v13, v131                              // 000000005C68: 0B07070D
	v_mul_f32_dpp v128, v15, v128 row_newbcast:0 row_mask:0xf bank_mask:0xf// 000000005C6C: 0B0100FA FF01500F
	v_mul_f32_dpp v129, v15, v129 row_newbcast:1 row_mask:0xf bank_mask:0xf// 000000005C74: 0B0302FA FF01510F
	v_mul_f32_dpp v130, v15, v130 row_newbcast:2 row_mask:0xf bank_mask:0xf// 000000005C7C: 0B0504FA FF01520F
	v_mul_f32_dpp v131, v15, v131 row_newbcast:3 row_mask:0xf bank_mask:0xf// 000000005C84: 0B0706FA FF01530F
	v_cvt_f32_i32_e32 v132, v132                               // 000000005C8C: 7F080B84
	v_cvt_f32_i32_e32 v133, v133                               // 000000005C90: 7F0A0B85
	v_cvt_f32_i32_e32 v134, v134                               // 000000005C94: 7F0C0B86
	v_cvt_f32_i32_e32 v135, v135                               // 000000005C98: 7F0E0B87
	v_mul_f32_e32 v132, v14, v132                              // 000000005C9C: 0B09090E
	v_mul_f32_e32 v133, v14, v133                              // 000000005CA0: 0B0B0B0E
	v_mul_f32_e32 v134, v14, v134                              // 000000005CA4: 0B0D0D0E
	v_mul_f32_e32 v135, v14, v135                              // 000000005CA8: 0B0F0F0E
	v_mul_f32_dpp v132, v15, v132 row_newbcast:0 row_mask:0xf bank_mask:0xf// 000000005CAC: 0B0908FA FF01500F
	v_mul_f32_dpp v133, v15, v133 row_newbcast:1 row_mask:0xf bank_mask:0xf// 000000005CB4: 0B0B0AFA FF01510F
	v_mul_f32_dpp v134, v15, v134 row_newbcast:2 row_mask:0xf bank_mask:0xf// 000000005CBC: 0B0D0CFA FF01520F
	v_mul_f32_dpp v135, v15, v135 row_newbcast:3 row_mask:0xf bank_mask:0xf// 000000005CC4: 0B0F0EFA FF01530F
	v_cvt_f32_i32_e32 v136, v136                               // 000000005CCC: 7F100B88
	v_cvt_f32_i32_e32 v137, v137                               // 000000005CD0: 7F120B89
	v_cvt_f32_i32_e32 v138, v138                               // 000000005CD4: 7F140B8A
	v_cvt_f32_i32_e32 v139, v139                               // 000000005CD8: 7F160B8B
	v_mul_f32_e32 v136, v13, v136                              // 000000005CDC: 0B11110D
	v_mul_f32_e32 v137, v13, v137                              // 000000005CE0: 0B13130D
	v_mul_f32_e32 v138, v13, v138                              // 000000005CE4: 0B15150D
	v_mul_f32_e32 v139, v13, v139                              // 000000005CE8: 0B17170D
	v_mul_f32_dpp v136, v15, v136 row_newbcast:4 row_mask:0xf bank_mask:0xf// 000000005CEC: 0B1110FA FF01540F
	v_mul_f32_dpp v137, v15, v137 row_newbcast:5 row_mask:0xf bank_mask:0xf// 000000005CF4: 0B1312FA FF01550F
	v_mul_f32_dpp v138, v15, v138 row_newbcast:6 row_mask:0xf bank_mask:0xf// 000000005CFC: 0B1514FA FF01560F
	v_mul_f32_dpp v139, v15, v139 row_newbcast:7 row_mask:0xf bank_mask:0xf// 000000005D04: 0B1716FA FF01570F
	v_cvt_f32_i32_e32 v140, v140                               // 000000005D0C: 7F180B8C
	v_cvt_f32_i32_e32 v141, v141                               // 000000005D10: 7F1A0B8D
	v_cvt_f32_i32_e32 v142, v142                               // 000000005D14: 7F1C0B8E
	v_cvt_f32_i32_e32 v143, v143                               // 000000005D18: 7F1E0B8F
	v_mul_f32_e32 v140, v14, v140                              // 000000005D1C: 0B19190E
	v_mul_f32_e32 v141, v14, v141                              // 000000005D20: 0B1B1B0E
	v_mul_f32_e32 v142, v14, v142                              // 000000005D24: 0B1D1D0E
	v_mul_f32_e32 v143, v14, v143                              // 000000005D28: 0B1F1F0E
	v_mul_f32_dpp v140, v15, v140 row_newbcast:4 row_mask:0xf bank_mask:0xf// 000000005D2C: 0B1918FA FF01540F
	v_mul_f32_dpp v141, v15, v141 row_newbcast:5 row_mask:0xf bank_mask:0xf// 000000005D34: 0B1B1AFA FF01550F
	v_mul_f32_dpp v142, v15, v142 row_newbcast:6 row_mask:0xf bank_mask:0xf// 000000005D3C: 0B1D1CFA FF01560F
	v_mul_f32_dpp v143, v15, v143 row_newbcast:7 row_mask:0xf bank_mask:0xf// 000000005D44: 0B1F1EFA FF01570F
	v_cvt_f32_i32_e32 v64, v64                                 // 000000005D4C: 7E800B40
	v_cvt_f32_i32_e32 v65, v65                                 // 000000005D50: 7E820B41
	v_cvt_f32_i32_e32 v66, v66                                 // 000000005D54: 7E840B42
	v_cvt_f32_i32_e32 v67, v67                                 // 000000005D58: 7E860B43
	v_mul_f32_e32 v64, v13, v64                                // 000000005D5C: 0A80810D
	v_mul_f32_e32 v65, v13, v65                                // 000000005D60: 0A82830D
	v_mul_f32_e32 v66, v13, v66                                // 000000005D64: 0A84850D
	v_mul_f32_e32 v67, v13, v67                                // 000000005D68: 0A86870D
	v_mul_f32_dpp v64, v42, v64 row_newbcast:0 row_mask:0xf bank_mask:0xf// 000000005D6C: 0A8080FA FF01502A
	v_mul_f32_dpp v65, v42, v65 row_newbcast:1 row_mask:0xf bank_mask:0xf// 000000005D74: 0A8282FA FF01512A
	v_mul_f32_dpp v66, v42, v66 row_newbcast:2 row_mask:0xf bank_mask:0xf// 000000005D7C: 0A8484FA FF01522A
	v_mul_f32_dpp v67, v42, v67 row_newbcast:3 row_mask:0xf bank_mask:0xf// 000000005D84: 0A8686FA FF01532A
	v_cvt_f32_i32_e32 v68, v68                                 // 000000005D8C: 7E880B44
	v_cvt_f32_i32_e32 v69, v69                                 // 000000005D90: 7E8A0B45
	v_cvt_f32_i32_e32 v70, v70                                 // 000000005D94: 7E8C0B46
	v_cvt_f32_i32_e32 v71, v71                                 // 000000005D98: 7E8E0B47
	v_mul_f32_e32 v68, v14, v68                                // 000000005D9C: 0A88890E
	v_mul_f32_e32 v69, v14, v69                                // 000000005DA0: 0A8A8B0E
	v_mul_f32_e32 v70, v14, v70                                // 000000005DA4: 0A8C8D0E
	v_mul_f32_e32 v71, v14, v71                                // 000000005DA8: 0A8E8F0E
	v_mul_f32_dpp v68, v42, v68 row_newbcast:0 row_mask:0xf bank_mask:0xf// 000000005DAC: 0A8888FA FF01502A
	v_mul_f32_dpp v69, v42, v69 row_newbcast:1 row_mask:0xf bank_mask:0xf// 000000005DB4: 0A8A8AFA FF01512A
	v_mul_f32_dpp v70, v42, v70 row_newbcast:2 row_mask:0xf bank_mask:0xf// 000000005DBC: 0A8C8CFA FF01522A
	v_mul_f32_dpp v71, v42, v71 row_newbcast:3 row_mask:0xf bank_mask:0xf// 000000005DC4: 0A8E8EFA FF01532A
	v_cvt_f32_i32_e32 v72, v72                                 // 000000005DCC: 7E900B48
	v_cvt_f32_i32_e32 v73, v73                                 // 000000005DD0: 7E920B49
	v_cvt_f32_i32_e32 v74, v74                                 // 000000005DD4: 7E940B4A
	v_cvt_f32_i32_e32 v75, v75                                 // 000000005DD8: 7E960B4B
	v_mul_f32_e32 v72, v13, v72                                // 000000005DDC: 0A90910D
	v_mul_f32_e32 v73, v13, v73                                // 000000005DE0: 0A92930D
	v_mul_f32_e32 v74, v13, v74                                // 000000005DE4: 0A94950D
	v_mul_f32_e32 v75, v13, v75                                // 000000005DE8: 0A96970D
	v_mul_f32_dpp v72, v42, v72 row_newbcast:4 row_mask:0xf bank_mask:0xf// 000000005DEC: 0A9090FA FF01542A
	v_mul_f32_dpp v73, v42, v73 row_newbcast:5 row_mask:0xf bank_mask:0xf// 000000005DF4: 0A9292FA FF01552A
	v_mul_f32_dpp v74, v42, v74 row_newbcast:6 row_mask:0xf bank_mask:0xf// 000000005DFC: 0A9494FA FF01562A
	v_mul_f32_dpp v75, v42, v75 row_newbcast:7 row_mask:0xf bank_mask:0xf// 000000005E04: 0A9696FA FF01572A
	v_cvt_f32_i32_e32 v76, v76                                 // 000000005E0C: 7E980B4C
	v_cvt_f32_i32_e32 v77, v77                                 // 000000005E10: 7E9A0B4D
	v_cvt_f32_i32_e32 v78, v78                                 // 000000005E14: 7E9C0B4E
	v_cvt_f32_i32_e32 v79, v79                                 // 000000005E18: 7E9E0B4F
	v_mul_f32_e32 v76, v14, v76                                // 000000005E1C: 0A98990E
	v_mul_f32_e32 v77, v14, v77                                // 000000005E20: 0A9A9B0E
	v_mul_f32_e32 v78, v14, v78                                // 000000005E24: 0A9C9D0E
	v_mul_f32_e32 v79, v14, v79                                // 000000005E28: 0A9E9F0E
	v_mul_f32_dpp v76, v42, v76 row_newbcast:4 row_mask:0xf bank_mask:0xf// 000000005E2C: 0A9898FA FF01542A
	v_mul_f32_dpp v77, v42, v77 row_newbcast:5 row_mask:0xf bank_mask:0xf// 000000005E34: 0A9A9AFA FF01552A
	v_mul_f32_dpp v78, v42, v78 row_newbcast:6 row_mask:0xf bank_mask:0xf// 000000005E3C: 0A9C9CFA FF01562A
	v_mul_f32_dpp v79, v42, v79 row_newbcast:7 row_mask:0xf bank_mask:0xf// 000000005E44: 0A9E9EFA FF01572A
	s_waitcnt vmcnt(4)                                         // 000000005E4C: BF8C0F74
	buffer_load_dwordx4 a[0:3], v34, s[12:15], 0 offen         // 000000005E50: E05C1000 80830022
	v_mul_f32_e32 v44, v128, v128                              // 000000005E58: 0A590180
	v_mul_f32_e32 v45, v129, v129                              // 000000005E5C: 0A5B0381
	v_mul_f32_e32 v46, v130, v130                              // 000000005E60: 0A5D0582
	v_mul_f32_e32 v47, v131, v131                              // 000000005E64: 0A5F0783
	v_fma_f32 v44, v44, s77, v1                                // 000000005E68: D1CB002C 04049B2C
	v_fma_f32 v45, v45, s77, v1                                // 000000005E70: D1CB002D 04049B2D
	v_fma_f32 v46, v46, s77, v1                                // 000000005E78: D1CB002E 04049B2E
	v_fma_f32 v47, v47, s77, v1                                // 000000005E80: D1CB002F 04049B2F
	v_mul_f32_e32 v44, v44, v128                               // 000000005E88: 0A59012C
	v_mul_f32_e32 v45, v45, v129                               // 000000005E8C: 0A5B032D
	v_mul_f32_e32 v46, v46, v130                               // 000000005E90: 0A5D052E
	v_mul_f32_e32 v47, v47, v131                               // 000000005E94: 0A5F072F
	v_mul_f32_e64 v44, v44, s6                                 // 000000005E98: D105002C 00000D2C
	v_mul_f32_e64 v45, v45, s6                                 // 000000005EA0: D105002D 00000D2D
	v_mul_f32_e64 v46, v46, s6                                 // 000000005EA8: D105002E 00000D2E
	v_mul_f32_e64 v47, v47, s6                                 // 000000005EB0: D105002F 00000D2F
	v_exp_f32_e32 v44, v44                                     // 000000005EB8: 7E58412C
	v_exp_f32_e32 v45, v45                                     // 000000005EBC: 7E5A412D
	v_exp_f32_e32 v46, v46                                     // 000000005EC0: 7E5C412E
	v_exp_f32_e32 v47, v47                                     // 000000005EC4: 7E5E412F
	buffer_load_dwordx4 a[4:7], v35, s[12:15], 0 offen         // 000000005EC8: E05C1000 80830423
	v_add_f32_e64 v44, v44, 1.0                                // 000000005ED0: D101002C 0001E52C
	v_add_f32_e64 v45, v45, 1.0                                // 000000005ED8: D101002D 0001E52D
	v_add_f32_e64 v46, v46, 1.0                                // 000000005EE0: D101002E 0001E52E
	v_add_f32_e64 v47, v47, 1.0                                // 000000005EE8: D101002F 0001E52F
	v_rcp_f32_e32 v44, v44                                     // 000000005EF0: 7E58452C
	v_rcp_f32_e32 v45, v45                                     // 000000005EF4: 7E5A452D
	v_rcp_f32_e32 v46, v46                                     // 000000005EF8: 7E5C452E
	v_rcp_f32_e32 v47, v47                                     // 000000005EFC: 7E5E452F
	v_mul_f32_e32 v128, v128, v44                              // 000000005F00: 0B005980
	v_mul_f32_e32 v129, v129, v45                              // 000000005F04: 0B025B81
	v_mul_f32_e32 v130, v130, v46                              // 000000005F08: 0B045D82
	v_mul_f32_e32 v131, v131, v47                              // 000000005F0C: 0B065F83
	v_mul_f32_e32 v128, v128, v64                              // 000000005F10: 0B008180
	v_mul_f32_e32 v129, v129, v65                              // 000000005F14: 0B028381
	v_mul_f32_e32 v130, v130, v66                              // 000000005F18: 0B048582
	v_mul_f32_e32 v131, v131, v67                              // 000000005F1C: 0B068783
	buffer_load_dwordx4 a[8:11], v36, s[12:15], 0 offen        // 000000005F20: E05C1000 80830824
	v_mul_f32_e32 v44, v132, v132                              // 000000005F28: 0A590984
	v_mul_f32_e32 v45, v133, v133                              // 000000005F2C: 0A5B0B85
	v_mul_f32_e32 v46, v134, v134                              // 000000005F30: 0A5D0D86
	v_mul_f32_e32 v47, v135, v135                              // 000000005F34: 0A5F0F87
	v_fma_f32 v44, v44, s77, v1                                // 000000005F38: D1CB002C 04049B2C
	v_fma_f32 v45, v45, s77, v1                                // 000000005F40: D1CB002D 04049B2D
	v_fma_f32 v46, v46, s77, v1                                // 000000005F48: D1CB002E 04049B2E
	v_fma_f32 v47, v47, s77, v1                                // 000000005F50: D1CB002F 04049B2F
	v_mul_f32_e32 v44, v44, v132                               // 000000005F58: 0A59092C
	v_mul_f32_e32 v45, v45, v133                               // 000000005F5C: 0A5B0B2D
	v_mul_f32_e32 v46, v46, v134                               // 000000005F60: 0A5D0D2E
	v_mul_f32_e32 v47, v47, v135                               // 000000005F64: 0A5F0F2F
	v_mul_f32_e64 v44, v44, s6                                 // 000000005F68: D105002C 00000D2C
	v_mul_f32_e64 v45, v45, s6                                 // 000000005F70: D105002D 00000D2D
	v_mul_f32_e64 v46, v46, s6                                 // 000000005F78: D105002E 00000D2E
	v_mul_f32_e64 v47, v47, s6                                 // 000000005F80: D105002F 00000D2F
	v_exp_f32_e32 v44, v44                                     // 000000005F88: 7E58412C
	v_exp_f32_e32 v45, v45                                     // 000000005F8C: 7E5A412D
	v_exp_f32_e32 v46, v46                                     // 000000005F90: 7E5C412E
	v_exp_f32_e32 v47, v47                                     // 000000005F94: 7E5E412F
	buffer_load_dwordx4 a[12:15], v37, s[12:15], 0 offen       // 000000005F98: E05C1000 80830C25
	s_add_u32 s12, s78, s12                                    // 000000005FA0: 800C0C4E
	s_addc_u32 s13, 0, s13                                     // 000000005FA4: 820D0D80
	v_add_f32_e64 v44, v44, 1.0                                // 000000005FA8: D101002C 0001E52C
	v_add_f32_e64 v45, v45, 1.0                                // 000000005FB0: D101002D 0001E52D
	v_add_f32_e64 v46, v46, 1.0                                // 000000005FB8: D101002E 0001E52E
	v_add_f32_e64 v47, v47, 1.0                                // 000000005FC0: D101002F 0001E52F
	v_rcp_f32_e32 v44, v44                                     // 000000005FC8: 7E58452C
	v_rcp_f32_e32 v45, v45                                     // 000000005FCC: 7E5A452D
	v_rcp_f32_e32 v46, v46                                     // 000000005FD0: 7E5C452E
	v_rcp_f32_e32 v47, v47                                     // 000000005FD4: 7E5E452F
	v_mul_f32_e32 v132, v132, v44                              // 000000005FD8: 0B085984
	v_mul_f32_e32 v133, v133, v45                              // 000000005FDC: 0B0A5B85
	v_mul_f32_e32 v134, v134, v46                              // 000000005FE0: 0B0C5D86
	v_mul_f32_e32 v135, v135, v47                              // 000000005FE4: 0B0E5F87
	v_mul_f32_e32 v132, v132, v68                              // 000000005FE8: 0B088984
	v_mul_f32_e32 v133, v133, v69                              // 000000005FEC: 0B0A8B85
	v_mul_f32_e32 v134, v134, v70                              // 000000005FF0: 0B0C8D86
	v_mul_f32_e32 v135, v135, v71                              // 000000005FF4: 0B0E8F87
	s_waitcnt vmcnt(4)                                         // 000000005FF8: BF8C0F74
	buffer_load_dwordx4 a[16:19], v34, s[12:15], 0 offen       // 000000005FFC: E05C1000 80831022
	v_mul_f32_e32 v44, v136, v136                              // 000000006004: 0A591188
	v_mul_f32_e32 v45, v137, v137                              // 000000006008: 0A5B1389
	v_mul_f32_e32 v46, v138, v138                              // 00000000600C: 0A5D158A
	v_mul_f32_e32 v47, v139, v139                              // 000000006010: 0A5F178B
	v_fma_f32 v44, v44, s77, v1                                // 000000006014: D1CB002C 04049B2C
	v_fma_f32 v45, v45, s77, v1                                // 00000000601C: D1CB002D 04049B2D
	v_fma_f32 v46, v46, s77, v1                                // 000000006024: D1CB002E 04049B2E
	v_fma_f32 v47, v47, s77, v1                                // 00000000602C: D1CB002F 04049B2F
	v_mul_f32_e32 v44, v44, v136                               // 000000006034: 0A59112C
	v_mul_f32_e32 v45, v45, v137                               // 000000006038: 0A5B132D
	v_mul_f32_e32 v46, v46, v138                               // 00000000603C: 0A5D152E
	v_mul_f32_e32 v47, v47, v139                               // 000000006040: 0A5F172F
	v_mul_f32_e64 v44, v44, s6                                 // 000000006044: D105002C 00000D2C
	v_mul_f32_e64 v45, v45, s6                                 // 00000000604C: D105002D 00000D2D
	v_mul_f32_e64 v46, v46, s6                                 // 000000006054: D105002E 00000D2E
	v_mul_f32_e64 v47, v47, s6                                 // 00000000605C: D105002F 00000D2F
	v_exp_f32_e32 v44, v44                                     // 000000006064: 7E58412C
	v_exp_f32_e32 v45, v45                                     // 000000006068: 7E5A412D
	v_exp_f32_e32 v46, v46                                     // 00000000606C: 7E5C412E
	v_exp_f32_e32 v47, v47                                     // 000000006070: 7E5E412F
	buffer_load_dwordx4 a[20:23], v35, s[12:15], 0 offen       // 000000006074: E05C1000 80831423
	v_add_f32_e64 v44, v44, 1.0                                // 00000000607C: D101002C 0001E52C
	v_add_f32_e64 v45, v45, 1.0                                // 000000006084: D101002D 0001E52D
	v_add_f32_e64 v46, v46, 1.0                                // 00000000608C: D101002E 0001E52E
	v_add_f32_e64 v47, v47, 1.0                                // 000000006094: D101002F 0001E52F
	v_rcp_f32_e32 v44, v44                                     // 00000000609C: 7E58452C
	v_rcp_f32_e32 v45, v45                                     // 0000000060A0: 7E5A452D
	v_rcp_f32_e32 v46, v46                                     // 0000000060A4: 7E5C452E
	v_rcp_f32_e32 v47, v47                                     // 0000000060A8: 7E5E452F
	v_mul_f32_e32 v136, v136, v44                              // 0000000060AC: 0B105988
	v_mul_f32_e32 v137, v137, v45                              // 0000000060B0: 0B125B89
	v_mul_f32_e32 v138, v138, v46                              // 0000000060B4: 0B145D8A
	v_mul_f32_e32 v139, v139, v47                              // 0000000060B8: 0B165F8B
	v_mul_f32_e32 v136, v136, v72                              // 0000000060BC: 0B109188
	v_mul_f32_e32 v137, v137, v73                              // 0000000060C0: 0B129389
	v_mul_f32_e32 v138, v138, v74                              // 0000000060C4: 0B14958A
	v_mul_f32_e32 v139, v139, v75                              // 0000000060C8: 0B16978B
	buffer_load_dwordx4 a[24:27], v36, s[12:15], 0 offen       // 0000000060CC: E05C1000 80831824
	v_mul_f32_e32 v44, v140, v140                              // 0000000060D4: 0A59198C
	v_mul_f32_e32 v45, v141, v141                              // 0000000060D8: 0A5B1B8D
	v_mul_f32_e32 v46, v142, v142                              // 0000000060DC: 0A5D1D8E
	v_mul_f32_e32 v47, v143, v143                              // 0000000060E0: 0A5F1F8F
	v_fma_f32 v44, v44, s77, v1                                // 0000000060E4: D1CB002C 04049B2C
	v_fma_f32 v45, v45, s77, v1                                // 0000000060EC: D1CB002D 04049B2D
	v_fma_f32 v46, v46, s77, v1                                // 0000000060F4: D1CB002E 04049B2E
	v_fma_f32 v47, v47, s77, v1                                // 0000000060FC: D1CB002F 04049B2F
	v_mul_f32_e32 v44, v44, v140                               // 000000006104: 0A59192C
	v_mul_f32_e32 v45, v45, v141                               // 000000006108: 0A5B1B2D
	v_mul_f32_e32 v46, v46, v142                               // 00000000610C: 0A5D1D2E
	v_mul_f32_e32 v47, v47, v143                               // 000000006110: 0A5F1F2F
	v_mul_f32_e64 v44, v44, s6                                 // 000000006114: D105002C 00000D2C
	v_mul_f32_e64 v45, v45, s6                                 // 00000000611C: D105002D 00000D2D
	v_mul_f32_e64 v46, v46, s6                                 // 000000006124: D105002E 00000D2E
	v_mul_f32_e64 v47, v47, s6                                 // 00000000612C: D105002F 00000D2F
	v_exp_f32_e32 v44, v44                                     // 000000006134: 7E58412C
	v_exp_f32_e32 v45, v45                                     // 000000006138: 7E5A412D
	v_exp_f32_e32 v46, v46                                     // 00000000613C: 7E5C412E
	v_exp_f32_e32 v47, v47                                     // 000000006140: 7E5E412F
	buffer_load_dwordx4 a[28:31], v37, s[12:15], 0 offen       // 000000006144: E05C1000 80831C25
	v_add_f32_e64 v44, v44, 1.0                                // 00000000614C: D101002C 0001E52C
	v_add_f32_e64 v45, v45, 1.0                                // 000000006154: D101002D 0001E52D
	v_add_f32_e64 v46, v46, 1.0                                // 00000000615C: D101002E 0001E52E
	v_add_f32_e64 v47, v47, 1.0                                // 000000006164: D101002F 0001E52F
	v_rcp_f32_e32 v44, v44                                     // 00000000616C: 7E58452C
	v_rcp_f32_e32 v45, v45                                     // 000000006170: 7E5A452D
	v_rcp_f32_e32 v46, v46                                     // 000000006174: 7E5C452E
	v_rcp_f32_e32 v47, v47                                     // 000000006178: 7E5E452F
	v_mul_f32_e32 v140, v140, v44                              // 00000000617C: 0B18598C
	v_mul_f32_e32 v141, v141, v45                              // 000000006180: 0B1A5B8D
	v_mul_f32_e32 v142, v142, v46                              // 000000006184: 0B1C5D8E
	v_mul_f32_e32 v143, v143, v47                              // 000000006188: 0B1E5F8F
	v_mul_f32_e32 v140, v140, v76                              // 00000000618C: 0B18998C
	v_mul_f32_e32 v141, v141, v77                              // 000000006190: 0B1A9B8D
	v_mul_f32_e32 v142, v142, v78                              // 000000006194: 0B1C9D8E
	v_mul_f32_e32 v143, v143, v79                              // 000000006198: 0B1E9F8F
	v_mul_f32_dpp v128, v16, v128 row_newbcast:0 row_mask:0xf bank_mask:0xf// 00000000619C: 0B0100FA FF015010
	v_mul_f32_dpp v129, v16, v129 row_newbcast:1 row_mask:0xf bank_mask:0xf// 0000000061A4: 0B0302FA FF015110
	v_mul_f32_dpp v130, v16, v130 row_newbcast:2 row_mask:0xf bank_mask:0xf// 0000000061AC: 0B0504FA FF015210
	v_mul_f32_dpp v131, v16, v131 row_newbcast:3 row_mask:0xf bank_mask:0xf// 0000000061B4: 0B0706FA FF015310
	v_mul_f32_dpp v132, v16, v132 row_newbcast:0 row_mask:0xf bank_mask:0xf// 0000000061BC: 0B0908FA FF015010
	v_mul_f32_dpp v133, v16, v133 row_newbcast:1 row_mask:0xf bank_mask:0xf// 0000000061C4: 0B0B0AFA FF015110
	v_mul_f32_dpp v134, v16, v134 row_newbcast:2 row_mask:0xf bank_mask:0xf// 0000000061CC: 0B0D0CFA FF015210
	v_mul_f32_dpp v135, v16, v135 row_newbcast:3 row_mask:0xf bank_mask:0xf// 0000000061D4: 0B0F0EFA FF015310
	v_mul_f32_dpp v136, v16, v136 row_newbcast:4 row_mask:0xf bank_mask:0xf// 0000000061DC: 0B1110FA FF015410
	v_mul_f32_dpp v137, v16, v137 row_newbcast:5 row_mask:0xf bank_mask:0xf// 0000000061E4: 0B1312FA FF015510
	v_mul_f32_dpp v138, v16, v138 row_newbcast:6 row_mask:0xf bank_mask:0xf// 0000000061EC: 0B1514FA FF015610
	v_mul_f32_dpp v139, v16, v139 row_newbcast:7 row_mask:0xf bank_mask:0xf// 0000000061F4: 0B1716FA FF015710
	v_mul_f32_dpp v140, v16, v140 row_newbcast:4 row_mask:0xf bank_mask:0xf// 0000000061FC: 0B1918FA FF015410
	v_mul_f32_dpp v141, v16, v141 row_newbcast:5 row_mask:0xf bank_mask:0xf// 000000006204: 0B1B1AFA FF015510
	v_mul_f32_dpp v142, v16, v142 row_newbcast:6 row_mask:0xf bank_mask:0xf// 00000000620C: 0B1D1CFA FF015610
	v_mul_f32_dpp v143, v16, v143 row_newbcast:7 row_mask:0xf bank_mask:0xf// 000000006214: 0B1F1EFA FF015710
	v_lshlrev_b32_e32 v44, 2, v0                               // 00000000621C: 24580082
	s_mul_i32 s60, s82, s71                                    // 000000006220: 923C4752
	v_add_u32_e64 v80, v44, s60                                // 000000006224: D1340050 0000792C
	v_mov_b32_e32 v81, 0                                       // 00000000622C: 7EA20280
	s_mul_i32 s60, s83, s71                                    // 000000006230: 923C4753
	v_add_u32_e64 v82, v44, s60                                // 000000006234: D1340052 0000792C
	v_mov_b32_e32 v83, 0                                       // 00000000623C: 7EA60280
	s_mul_i32 s60, s84, s71                                    // 000000006240: 923C4754
	v_add_u32_e64 v84, v44, s60                                // 000000006244: D1340054 0000792C
	v_mov_b32_e32 v85, 0                                       // 00000000624C: 7EAA0280
	s_mul_i32 s60, s85, s71                                    // 000000006250: 923C4755
	v_add_u32_e64 v86, v44, s60                                // 000000006254: D1340056 0000792C
	v_mov_b32_e32 v87, 0                                       // 00000000625C: 7EAE0280
	s_mul_i32 s60, s86, s71                                    // 000000006260: 923C4756
	v_add_u32_e64 v88, v44, s60                                // 000000006264: D1340058 0000792C
	v_mov_b32_e32 v89, 0                                       // 00000000626C: 7EB20280
	s_mul_i32 s60, s87, s71                                    // 000000006270: 923C4757
	v_add_u32_e64 v90, v44, s60                                // 000000006274: D134005A 0000792C
	v_mov_b32_e32 v91, 0                                       // 00000000627C: 7EB60280
	s_mul_i32 s60, s88, s71                                    // 000000006280: 923C4758
	v_add_u32_e64 v92, v44, s60                                // 000000006284: D134005C 0000792C
	v_mov_b32_e32 v93, 0                                       // 00000000628C: 7EBA0280
	s_mul_i32 s60, s89, s71                                    // 000000006290: 923C4759
	v_add_u32_e64 v94, v44, s60                                // 000000006294: D134005E 0000792C
	v_mov_b32_e32 v95, 0                                       // 00000000629C: 7EBE0280
	buffer_load_dword v11, v5, s[16:19], 0 offen               // 0000000062A0: E0501000 80040B05
	v_mov_b32_e32 v20, 0x358637bd                              // 0000000062A8: 7E2802FF 358637BD
	v_mov_b32_e32 v21, 0x358637bd                              // 0000000062B0: 7E2A02FF 358637BD
	v_max3_f32 v20, |v128|, |v129|, v20                        // 0000000062B8: D1D30314 04530380
	v_max3_f32 v20, |v130|, |v131|, v20                        // 0000000062C0: D1D30314 04530782
	v_max3_f32 v21, |v132|, |v133|, v21                        // 0000000062C8: D1D30315 04570B84
	v_max3_f32 v21, |v134|, |v135|, v21                        // 0000000062D0: D1D30315 04570F86
	v_max3_f32 v20, |v136|, |v137|, v20                        // 0000000062D8: D1D30314 04531388
	v_max3_f32 v20, |v138|, |v139|, v20                        // 0000000062E0: D1D30314 0453178A
	v_max3_f32 v21, |v140|, |v141|, v21                        // 0000000062E8: D1D30315 04571B8C
	v_max3_f32 v21, |v142|, |v143|, v21                        // 0000000062F0: D1D30315 04571F8E
	v_lshlrev_b32_e32 v44, 3, v0                               // 0000000062F8: 24580083
	s_mul_i32 s60, 0x200, s7                                   // 0000000062FC: 923C07FF 00000200
	v_add_u32_e32 v44, s60, v44                                // 000000006304: 6858583C
	ds_write_b64 v44, v[20:21] offset:16640                    // 000000006308: D89A4100 0000142C
	s_waitcnt lgkmcnt(0)                                       // 000000006310: BF8CC07F
	s_barrier                                                  // 000000006314: BF8A0000
	v_and_b32_e32 v44, 15, v0                                  // 000000006318: 2658008F
	v_lshlrev_b32_e32 v44, 3, v44                              // 00000000631C: 24585883
	ds_read_b64 v[96:97], v44 offset:16640                     // 000000006320: D8EC4100 6000002C
	ds_read_b64 v[98:99], v44 offset:16768                     // 000000006328: D8EC4180 6200002C
	ds_read_b64 v[100:101], v44 offset:16896                   // 000000006330: D8EC4200 6400002C
	ds_read_b64 v[102:103], v44 offset:17024                   // 000000006338: D8EC4280 6600002C
	ds_read_b64 v[104:105], v44 offset:17152                   // 000000006340: D8EC4300 6800002C
	ds_read_b64 v[106:107], v44 offset:17280                   // 000000006348: D8EC4380 6A00002C
	ds_read_b64 v[108:109], v44 offset:17408                   // 000000006350: D8EC4400 6C00002C
	ds_read_b64 v[110:111], v44 offset:17536                   // 000000006358: D8EC4480 6E00002C
	ds_read_b64 v[112:113], v44 offset:17664                   // 000000006360: D8EC4500 7000002C
	ds_read_b64 v[114:115], v44 offset:17792                   // 000000006368: D8EC4580 7200002C
	ds_read_b64 v[116:117], v44 offset:17920                   // 000000006370: D8EC4600 7400002C
	ds_read_b64 v[118:119], v44 offset:18048                   // 000000006378: D8EC4680 7600002C
	ds_read_b64 v[120:121], v44 offset:18176                   // 000000006380: D8EC4700 7800002C
	ds_read_b64 v[122:123], v44 offset:18304                   // 000000006388: D8EC4780 7A00002C
	ds_read_b64 v[124:125], v44 offset:18432                   // 000000006390: D8EC4800 7C00002C
	ds_read_b64 v[126:127], v44 offset:18560                   // 000000006398: D8EC4880 7E00002C
	s_waitcnt lgkmcnt(0)                                       // 0000000063A0: BF8CC07F
	v_max3_f32 v20, |v96|, |v98|, v20                          // 0000000063A4: D1D30314 0452C560
	v_max3_f32 v21, |v97|, |v99|, v21                          // 0000000063AC: D1D30315 0456C761
	v_max3_f32 v20, |v100|, |v102|, v20                        // 0000000063B4: D1D30314 0452CD64
	v_max3_f32 v21, |v101|, |v103|, v21                        // 0000000063BC: D1D30315 0456CF65
	v_max3_f32 v20, |v104|, |v106|, v20                        // 0000000063C4: D1D30314 0452D568
	v_max3_f32 v21, |v105|, |v107|, v21                        // 0000000063CC: D1D30315 0456D769
	v_max3_f32 v20, |v108|, |v110|, v20                        // 0000000063D4: D1D30314 0452DD6C
	v_max3_f32 v21, |v109|, |v111|, v21                        // 0000000063DC: D1D30315 0456DF6D
	v_max3_f32 v20, |v112|, |v114|, v20                        // 0000000063E4: D1D30314 0452E570
	v_max3_f32 v21, |v113|, |v115|, v21                        // 0000000063EC: D1D30315 0456E771
	v_max3_f32 v20, |v116|, |v118|, v20                        // 0000000063F4: D1D30314 0452ED74
	v_max3_f32 v21, |v117|, |v119|, v21                        // 0000000063FC: D1D30315 0456EF75
	v_max3_f32 v20, |v120|, |v122|, v20                        // 000000006404: D1D30314 0452F578
	v_max3_f32 v21, |v121|, |v123|, v21                        // 00000000640C: D1D30315 0456F779
	v_max3_f32 v20, |v124|, |v126|, v20                        // 000000006414: D1D30314 0452FD7C
	v_max3_f32 v21, |v125|, |v127|, v21                        // 00000000641C: D1D30315 0456FF7D
	v_rcp_f32_e32 v20, v20                                     // 000000006424: 7E284514
	v_rcp_f32_e32 v21, v21                                     // 000000006428: 7E2A4515
	v_mul_f32_e32 v20, 0x42fe0000, v20                         // 00000000642C: 0A2828FF 42FE0000
	v_mul_f32_e32 v21, 0x42fe0000, v21                         // 000000006434: 0A2A2AFF 42FE0000
	v_mul_f32_e32 v128, v20, v128                              // 00000000643C: 0B010114
	v_mul_f32_e32 v129, v20, v129                              // 000000006440: 0B030314
	v_mul_f32_e32 v130, v20, v130                              // 000000006444: 0B050514
	v_mul_f32_e32 v131, v20, v131                              // 000000006448: 0B070714
	v_cvt_i32_f32_e32 v128, v128                               // 00000000644C: 7F001180
	v_cvt_i32_f32_e32 v129, v129                               // 000000006450: 7F021181
	v_cvt_i32_f32_e32 v130, v130                               // 000000006454: 7F041182
	v_cvt_i32_f32_e32 v131, v131                               // 000000006458: 7F061183
	v_perm_b32 v128, v129, v128, s53                           // 00000000645C: D1ED0080 00D70181
	v_perm_b32 v128, v130, v128, s54                           // 000000006464: D1ED0080 00DB0182
	v_perm_b32 v128, v131, v128, s55                           // 00000000646C: D1ED0080 00DF0183
	v_mul_f32_e32 v132, v21, v132                              // 000000006474: 0B090915
	v_mul_f32_e32 v133, v21, v133                              // 000000006478: 0B0B0B15
	v_mul_f32_e32 v134, v21, v134                              // 00000000647C: 0B0D0D15
	v_mul_f32_e32 v135, v21, v135                              // 000000006480: 0B0F0F15
	v_cvt_i32_f32_e32 v132, v132                               // 000000006484: 7F081184
	v_cvt_i32_f32_e32 v133, v133                               // 000000006488: 7F0A1185
	v_cvt_i32_f32_e32 v134, v134                               // 00000000648C: 7F0C1186
	v_cvt_i32_f32_e32 v135, v135                               // 000000006490: 7F0E1187
	v_perm_b32 v129, v133, v132, s53                           // 000000006494: D1ED0081 00D70985
	v_perm_b32 v129, v134, v129, s54                           // 00000000649C: D1ED0081 00DB0386
	v_perm_b32 v129, v135, v129, s55                           // 0000000064A4: D1ED0081 00DF0387
	v_mul_f32_e32 v136, v20, v136                              // 0000000064AC: 0B111114
	v_mul_f32_e32 v137, v20, v137                              // 0000000064B0: 0B131314
	v_mul_f32_e32 v138, v20, v138                              // 0000000064B4: 0B151514
	v_mul_f32_e32 v139, v20, v139                              // 0000000064B8: 0B171714
	v_cvt_i32_f32_e32 v136, v136                               // 0000000064BC: 7F101188
	v_cvt_i32_f32_e32 v137, v137                               // 0000000064C0: 7F121189
	v_cvt_i32_f32_e32 v138, v138                               // 0000000064C4: 7F14118A
	v_cvt_i32_f32_e32 v139, v139                               // 0000000064C8: 7F16118B
	v_perm_b32 v130, v137, v136, s53                           // 0000000064CC: D1ED0082 00D71189
	v_perm_b32 v130, v138, v130, s54                           // 0000000064D4: D1ED0082 00DB058A
	v_perm_b32 v130, v139, v130, s55                           // 0000000064DC: D1ED0082 00DF058B
	v_mul_f32_e32 v140, v21, v140                              // 0000000064E4: 0B191915
	v_mul_f32_e32 v141, v21, v141                              // 0000000064E8: 0B1B1B15
	v_mul_f32_e32 v142, v21, v142                              // 0000000064EC: 0B1D1D15
	v_mul_f32_e32 v143, v21, v143                              // 0000000064F0: 0B1F1F15
	v_cvt_i32_f32_e32 v140, v140                               // 0000000064F4: 7F18118C
	v_cvt_i32_f32_e32 v141, v141                               // 0000000064F8: 7F1A118D
	v_cvt_i32_f32_e32 v142, v142                               // 0000000064FC: 7F1C118E
	v_cvt_i32_f32_e32 v143, v143                               // 000000006500: 7F1E118F
	v_perm_b32 v131, v141, v140, s53                           // 000000006504: D1ED0083 00D7198D
	v_perm_b32 v131, v142, v131, s54                           // 00000000650C: D1ED0083 00DB078E
	v_perm_b32 v131, v143, v131, s55                           // 000000006514: D1ED0083 00DF078F
	v_rcp_f32_e32 v22, v20                                     // 00000000651C: 7E2C4514
	v_rcp_f32_e32 v23, v21                                     // 000000006520: 7E2E4515
	v_lshrrev_b32_e32 v44, 5, v0                               // 000000006524: 20580085
	v_lshlrev_b32_e32 v45, 5, v44                              // 000000006528: 245A5885
	v_and_b32_e32 v44, 31, v0                                  // 00000000652C: 2658009F
	v_lshrrev_b32_e32 v46, 4, v44                              // 000000006530: 205C5884
	v_add_u32_e32 v45, v46, v45                                // 000000006534: 685A5B2E
	v_and_b32_e32 v44, 15, v0                                  // 000000006538: 2658008F
	v_lshlrev_b32_e32 v44, 1, v44                              // 00000000653C: 24585881
	v_add_u32_e32 v45, v44, v45                                // 000000006540: 685A5B2C
	v_lshlrev_b32_e32 v44, 2, v45                              // 000000006544: 24585A82
	s_mul_i32 s60, 0x100, s7                                   // 000000006548: 923C07FF 00000100
	v_add_u32_e64 v44, v44, s60                                // 000000006550: D134002C 0000792C
	ds_write_b32 v44, v128 offset:18688                        // 000000006558: D81A4900 0000802C
	ds_write_b32 v44, v129 offset:20736                        // 000000006560: D81A5100 0000812C
	ds_write_b32 v44, v130 offset:19712                        // 000000006568: D81A4D00 0000822C
	ds_write_b32 v44, v131 offset:21760                        // 000000006570: D81A5500 0000832C
	s_waitcnt lgkmcnt(0)                                       // 000000006578: BF8CC07F
	s_barrier                                                  // 00000000657C: BF8A0000
	v_lshrrev_b32_e32 v44, 4, v0                               // 000000006580: 20580084
	v_lshlrev_b32_e32 v45, 6, v44                              // 000000006584: 245A5886
	v_and_b32_e32 v44, 15, v0                                  // 000000006588: 2658008F
	v_lshlrev_b32_e32 v44, 1, v44                              // 00000000658C: 24585881
	v_add_u32_e32 v45, v44, v45                                // 000000006590: 685A5B2C
	v_lshlrev_b32_e32 v44, 2, v45                              // 000000006594: 24585A82
	ds_read_b64 v[128:129], v44 offset:18688                   // 000000006598: D8EC4900 8000002C
	ds_read_b64 v[130:131], v44 offset:18816                   // 0000000065A0: D8EC4980 8200002C
	ds_read_b64 v[132:133], v44 offset:19712                   // 0000000065A8: D8EC4D00 8400002C
	ds_read_b64 v[134:135], v44 offset:19840                   // 0000000065B0: D8EC4D80 8600002C
	ds_read_b64 v[136:137], v44 offset:20736                   // 0000000065B8: D8EC5100 8800002C
	ds_read_b64 v[138:139], v44 offset:20864                   // 0000000065C0: D8EC5180 8A00002C
	ds_read_b64 v[140:141], v44 offset:21760                   // 0000000065C8: D8EC5500 8C00002C
	ds_read_b64 v[142:143], v44 offset:21888                   // 0000000065D0: D8EC5580 8E00002C
	s_add_u32 s12, s56, s12                                    // 0000000065D8: 800C0C38
	s_addc_u32 s13, 0, s13                                     // 0000000065DC: 820D0D80
	s_add_u32 s16, s79, s16                                    // 0000000065E0: 8010104F
	s_addc_u32 s17, 0, s17                                     // 0000000065E4: 82111180
	s_mov_b32 s80, 0                                           // 0000000065E8: BED00080
	s_waitcnt vmcnt(0) expcnt(0) lgkmcnt(0)                    // 0000000065EC: BF8C0000

00000000000065f0 <label_0DFC>:
	s_waitcnt vmcnt(21)                                        // 0000000065F0: BF8C4F75
	s_barrier                                                  // 0000000065F4: BF8A0000
	v_mfma_i32_16x16x32_i8 v[144:147], a[0:1], v[128:129], 0   // 0000000065F8: D3D70090 0A030100
	buffer_load_dwordx4 a[32:35], v34, s[12:15], 0 offen       // 000000006600: E05C1000 80832022
	v_mfma_i32_16x16x32_i8 v[144:147], a[2:3], v[130:131], v[144:147]// 000000006608: D3D70090 0E430502
	v_mfma_i32_16x16x32_i8 v[148:151], a[0:1], v[136:137], 0   // 000000006610: D3D70094 0A031100
	v_mfma_i32_16x16x32_i8 v[148:151], a[2:3], v[138:139], v[148:151]// 000000006618: D3D70094 0E531502
	v_mfma_i32_16x16x32_i8 v[152:155], a[4:5], v[128:129], 0   // 000000006620: D3D70098 0A030104
	buffer_load_dwordx4 a[36:39], v35, s[12:15], 0 offen       // 000000006628: E05C1000 80832423
	v_mfma_i32_16x16x32_i8 v[152:155], a[6:7], v[130:131], v[152:155]// 000000006630: D3D70098 0E630506
	v_mfma_i32_16x16x32_i8 v[156:159], a[4:5], v[136:137], 0   // 000000006638: D3D7009C 0A031104
	v_mfma_i32_16x16x32_i8 v[156:159], a[6:7], v[138:139], v[156:159]// 000000006640: D3D7009C 0E731506
	v_mfma_i32_16x16x32_i8 v[160:163], a[8:9], v[128:129], 0   // 000000006648: D3D700A0 0A030108
	buffer_load_dwordx4 a[40:43], v36, s[12:15], 0 offen       // 000000006650: E05C1000 80832824
	v_mfma_i32_16x16x32_i8 v[160:163], a[10:11], v[130:131], v[160:163]// 000000006658: D3D700A0 0E83050A
	v_mfma_i32_16x16x32_i8 v[164:167], a[8:9], v[136:137], 0   // 000000006660: D3D700A4 0A031108
	v_mfma_i32_16x16x32_i8 v[164:167], a[10:11], v[138:139], v[164:167]// 000000006668: D3D700A4 0E93150A
	v_mfma_i32_16x16x32_i8 v[168:171], a[12:13], v[128:129], 0 // 000000006670: D3D700A8 0A03010C
	buffer_load_dwordx4 a[44:47], v37, s[12:15], 0 offen       // 000000006678: E05C1000 80832C25
	s_add_u32 s12, s78, s12                                    // 000000006680: 800C0C4E
	s_addc_u32 s13, 0, s13                                     // 000000006684: 820D0D80
	v_mfma_i32_16x16x32_i8 v[168:171], a[14:15], v[130:131], v[168:171]// 000000006688: D3D700A8 0EA3050E
	v_mfma_i32_16x16x32_i8 v[172:175], a[12:13], v[136:137], 0 // 000000006690: D3D700AC 0A03110C
	v_mfma_i32_16x16x32_i8 v[172:175], a[14:15], v[138:139], v[172:175]// 000000006698: D3D700AC 0EB3150E
	s_waitcnt vmcnt(20)                                        // 0000000066A0: BF8C4F74
	v_mfma_i32_16x16x32_i8 v[144:147], a[16:17], v[132:133], v[144:147]// 0000000066A4: D3D70090 0E430910
	buffer_load_dwordx4 a[48:51], v34, s[12:15], 0 offen       // 0000000066AC: E05C1000 80833022
	v_mfma_i32_16x16x32_i8 v[144:147], a[18:19], v[134:135], v[144:147]// 0000000066B4: D3D70090 0E430D12
	v_mfma_i32_16x16x32_i8 v[148:151], a[16:17], v[140:141], v[148:151]// 0000000066BC: D3D70094 0E531910
	buffer_load_dword v12, v5, s[16:19], 0 offen               // 0000000066C4: E0501000 80040C05
	v_mfma_i32_16x16x32_i8 v[148:151], a[18:19], v[142:143], v[148:151]// 0000000066CC: D3D70094 0E531D12
	v_mfma_i32_16x16x32_i8 v[152:155], a[20:21], v[132:133], v[152:155]// 0000000066D4: D3D70098 0E630914
	buffer_load_dwordx4 a[52:55], v35, s[12:15], 0 offen       // 0000000066DC: E05C1000 80833423
	v_mfma_i32_16x16x32_i8 v[152:155], a[22:23], v[134:135], v[152:155]// 0000000066E4: D3D70098 0E630D16
	v_mfma_i32_16x16x32_i8 v[156:159], a[20:21], v[140:141], v[156:159]// 0000000066EC: D3D7009C 0E731914
	v_mfma_i32_16x16x32_i8 v[156:159], a[22:23], v[142:143], v[156:159]// 0000000066F4: D3D7009C 0E731D16
	v_mfma_i32_16x16x32_i8 v[160:163], a[24:25], v[132:133], v[160:163]// 0000000066FC: D3D700A0 0E830918
	buffer_load_dwordx4 a[56:59], v36, s[12:15], 0 offen       // 000000006704: E05C1000 80833824
	v_mfma_i32_16x16x32_i8 v[160:163], a[26:27], v[134:135], v[160:163]// 00000000670C: D3D700A0 0E830D1A
	v_mfma_i32_16x16x32_i8 v[164:167], a[24:25], v[140:141], v[164:167]// 000000006714: D3D700A4 0E931918
	v_mfma_i32_16x16x32_i8 v[164:167], a[26:27], v[142:143], v[164:167]// 00000000671C: D3D700A4 0E931D1A
	v_mfma_i32_16x16x32_i8 v[168:171], a[28:29], v[132:133], v[168:171]// 000000006724: D3D700A8 0EA3091C
	buffer_load_dwordx4 a[60:63], v37, s[12:15], 0 offen       // 00000000672C: E05C1000 80833C25
	v_mfma_i32_16x16x32_i8 v[168:171], a[30:31], v[134:135], v[168:171]// 000000006734: D3D700A8 0EA30D1E
	v_mfma_i32_16x16x32_i8 v[172:175], a[28:29], v[140:141], v[172:175]// 00000000673C: D3D700AC 0EB3191C
	v_mfma_i32_16x16x32_i8 v[172:175], a[30:31], v[142:143], v[172:175]// 000000006744: D3D700AC 0EB31D1E
	s_add_u32 s60, 0x200, s80                                  // 00000000674C: 803C50FF 00000200
	s_cmp_lt_u32 s60, s81                                      // 000000006754: BF0A513C
	s_cselect_b32 s56, s56, 0                                  // 000000006758: 85388038
	s_cselect_b32 s78, s78, 0                                  // 00000000675C: 854E804E
	s_cselect_b32 s79, s79, 0                                  // 000000006760: 854F804F
	s_add_u32 s12, s56, s12                                    // 000000006764: 800C0C38
	s_addc_u32 s13, 0, s13                                     // 000000006768: 820D0D80
	s_add_u32 s16, s79, s16                                    // 00000000676C: 8010104F
	s_addc_u32 s17, 0, s17                                     // 000000006770: 82111180
	v_cvt_f32_i32_e32 v144, v144                               // 000000006774: 7F200B90
	v_cvt_f32_i32_e32 v145, v145                               // 000000006778: 7F220B91
	v_cvt_f32_i32_e32 v146, v146                               // 00000000677C: 7F240B92
	v_cvt_f32_i32_e32 v147, v147                               // 000000006780: 7F260B93
	v_mul_f32_e32 v144, v22, v144                              // 000000006784: 0B212116
	v_mul_f32_e32 v145, v22, v145                              // 000000006788: 0B232316
	v_mul_f32_e32 v146, v22, v146                              // 00000000678C: 0B252516
	v_mul_f32_e32 v147, v22, v147                              // 000000006790: 0B272716
	v_mul_f32_dpp v144, v11, v144 row_newbcast:0 row_mask:0xf bank_mask:0xf// 000000006794: 0B2120FA FF01500B
	v_mul_f32_dpp v145, v11, v145 row_newbcast:1 row_mask:0xf bank_mask:0xf// 00000000679C: 0B2322FA FF01510B
	v_mul_f32_dpp v146, v11, v146 row_newbcast:2 row_mask:0xf bank_mask:0xf// 0000000067A4: 0B2524FA FF01520B
	v_mul_f32_dpp v147, v11, v147 row_newbcast:3 row_mask:0xf bank_mask:0xf// 0000000067AC: 0B2726FA FF01530B
	v_mul_f32_e32 v144, v17, v144                              // 0000000067B4: 0B212111
	v_mul_f32_e32 v145, v17, v145                              // 0000000067B8: 0B232311
	v_mul_f32_e32 v146, v17, v146                              // 0000000067BC: 0B252511
	v_mul_f32_e32 v147, v17, v147                              // 0000000067C0: 0B272711
	v_cvt_f32_i32_e32 v148, v148                               // 0000000067C4: 7F280B94
	v_cvt_f32_i32_e32 v149, v149                               // 0000000067C8: 7F2A0B95
	v_cvt_f32_i32_e32 v150, v150                               // 0000000067CC: 7F2C0B96
	v_cvt_f32_i32_e32 v151, v151                               // 0000000067D0: 7F2E0B97
	v_mul_f32_e32 v148, v23, v148                              // 0000000067D4: 0B292917
	v_mul_f32_e32 v149, v23, v149                              // 0000000067D8: 0B2B2B17
	v_mul_f32_e32 v150, v23, v150                              // 0000000067DC: 0B2D2D17
	v_mul_f32_e32 v151, v23, v151                              // 0000000067E0: 0B2F2F17
	v_mul_f32_dpp v148, v11, v148 row_newbcast:0 row_mask:0xf bank_mask:0xf// 0000000067E4: 0B2928FA FF01500B
	v_mul_f32_dpp v149, v11, v149 row_newbcast:1 row_mask:0xf bank_mask:0xf// 0000000067EC: 0B2B2AFA FF01510B
	v_mul_f32_dpp v150, v11, v150 row_newbcast:2 row_mask:0xf bank_mask:0xf// 0000000067F4: 0B2D2CFA FF01520B
	v_mul_f32_dpp v151, v11, v151 row_newbcast:3 row_mask:0xf bank_mask:0xf// 0000000067FC: 0B2F2EFA FF01530B
	v_mul_f32_e32 v148, v18, v148                              // 000000006804: 0B292912
	v_mul_f32_e32 v149, v18, v149                              // 000000006808: 0B2B2B12
	v_mul_f32_e32 v150, v18, v150                              // 00000000680C: 0B2D2D12
	v_mul_f32_e32 v151, v18, v151                              // 000000006810: 0B2F2F12
	v_cvt_f32_i32_e32 v152, v152                               // 000000006814: 7F300B98
	v_cvt_f32_i32_e32 v153, v153                               // 000000006818: 7F320B99
	v_cvt_f32_i32_e32 v154, v154                               // 00000000681C: 7F340B9A
	v_cvt_f32_i32_e32 v155, v155                               // 000000006820: 7F360B9B
	v_mul_f32_e32 v152, v22, v152                              // 000000006824: 0B313116
	v_mul_f32_e32 v153, v22, v153                              // 000000006828: 0B333316
	v_mul_f32_e32 v154, v22, v154                              // 00000000682C: 0B353516
	v_mul_f32_e32 v155, v22, v155                              // 000000006830: 0B373716
	v_mul_f32_dpp v152, v11, v152 row_newbcast:4 row_mask:0xf bank_mask:0xf// 000000006834: 0B3130FA FF01540B
	v_mul_f32_dpp v153, v11, v153 row_newbcast:5 row_mask:0xf bank_mask:0xf// 00000000683C: 0B3332FA FF01550B
	v_mul_f32_dpp v154, v11, v154 row_newbcast:6 row_mask:0xf bank_mask:0xf// 000000006844: 0B3534FA FF01560B
	v_mul_f32_dpp v155, v11, v155 row_newbcast:7 row_mask:0xf bank_mask:0xf// 00000000684C: 0B3736FA FF01570B
	v_mul_f32_e32 v152, v17, v152                              // 000000006854: 0B313111
	v_mul_f32_e32 v153, v17, v153                              // 000000006858: 0B333311
	v_mul_f32_e32 v154, v17, v154                              // 00000000685C: 0B353511
	v_mul_f32_e32 v155, v17, v155                              // 000000006860: 0B373711
	v_cvt_f32_i32_e32 v156, v156                               // 000000006864: 7F380B9C
	v_cvt_f32_i32_e32 v157, v157                               // 000000006868: 7F3A0B9D
	v_cvt_f32_i32_e32 v158, v158                               // 00000000686C: 7F3C0B9E
	v_cvt_f32_i32_e32 v159, v159                               // 000000006870: 7F3E0B9F
	v_mul_f32_e32 v156, v23, v156                              // 000000006874: 0B393917
	v_mul_f32_e32 v157, v23, v157                              // 000000006878: 0B3B3B17
	v_mul_f32_e32 v158, v23, v158                              // 00000000687C: 0B3D3D17
	v_mul_f32_e32 v159, v23, v159                              // 000000006880: 0B3F3F17
	v_mul_f32_dpp v156, v11, v156 row_newbcast:4 row_mask:0xf bank_mask:0xf// 000000006884: 0B3938FA FF01540B
	v_mul_f32_dpp v157, v11, v157 row_newbcast:5 row_mask:0xf bank_mask:0xf// 00000000688C: 0B3B3AFA FF01550B
	v_mul_f32_dpp v158, v11, v158 row_newbcast:6 row_mask:0xf bank_mask:0xf// 000000006894: 0B3D3CFA FF01560B
	v_mul_f32_dpp v159, v11, v159 row_newbcast:7 row_mask:0xf bank_mask:0xf// 00000000689C: 0B3F3EFA FF01570B
	v_mul_f32_e32 v156, v18, v156                              // 0000000068A4: 0B393912
	v_mul_f32_e32 v157, v18, v157                              // 0000000068A8: 0B3B3B12
	v_mul_f32_e32 v158, v18, v158                              // 0000000068AC: 0B3D3D12
	v_mul_f32_e32 v159, v18, v159                              // 0000000068B0: 0B3F3F12
	v_cvt_f32_i32_e32 v160, v160                               // 0000000068B4: 7F400BA0
	v_cvt_f32_i32_e32 v161, v161                               // 0000000068B8: 7F420BA1
	v_cvt_f32_i32_e32 v162, v162                               // 0000000068BC: 7F440BA2
	v_cvt_f32_i32_e32 v163, v163                               // 0000000068C0: 7F460BA3
	v_mul_f32_e32 v160, v22, v160                              // 0000000068C4: 0B414116
	v_mul_f32_e32 v161, v22, v161                              // 0000000068C8: 0B434316
	v_mul_f32_e32 v162, v22, v162                              // 0000000068CC: 0B454516
	v_mul_f32_e32 v163, v22, v163                              // 0000000068D0: 0B474716
	v_mul_f32_dpp v160, v11, v160 row_newbcast:8 row_mask:0xf bank_mask:0xf// 0000000068D4: 0B4140FA FF01580B
	v_mul_f32_dpp v161, v11, v161 row_newbcast:9 row_mask:0xf bank_mask:0xf// 0000000068DC: 0B4342FA FF01590B
	v_mul_f32_dpp v162, v11, v162 row_newbcast:10 row_mask:0xf bank_mask:0xf// 0000000068E4: 0B4544FA FF015A0B
	v_mul_f32_dpp v163, v11, v163 row_newbcast:11 row_mask:0xf bank_mask:0xf// 0000000068EC: 0B4746FA FF015B0B
	v_mul_f32_e32 v160, v17, v160                              // 0000000068F4: 0B414111
	v_mul_f32_e32 v161, v17, v161                              // 0000000068F8: 0B434311
	v_mul_f32_e32 v162, v17, v162                              // 0000000068FC: 0B454511
	v_mul_f32_e32 v163, v17, v163                              // 000000006900: 0B474711
	v_cvt_f32_i32_e32 v164, v164                               // 000000006904: 7F480BA4
	v_cvt_f32_i32_e32 v165, v165                               // 000000006908: 7F4A0BA5
	v_cvt_f32_i32_e32 v166, v166                               // 00000000690C: 7F4C0BA6
	v_cvt_f32_i32_e32 v167, v167                               // 000000006910: 7F4E0BA7
	v_mul_f32_e32 v164, v23, v164                              // 000000006914: 0B494917
	v_mul_f32_e32 v165, v23, v165                              // 000000006918: 0B4B4B17
	v_mul_f32_e32 v166, v23, v166                              // 00000000691C: 0B4D4D17
	v_mul_f32_e32 v167, v23, v167                              // 000000006920: 0B4F4F17
	v_mul_f32_dpp v164, v11, v164 row_newbcast:8 row_mask:0xf bank_mask:0xf// 000000006924: 0B4948FA FF01580B
	v_mul_f32_dpp v165, v11, v165 row_newbcast:9 row_mask:0xf bank_mask:0xf// 00000000692C: 0B4B4AFA FF01590B
	v_mul_f32_dpp v166, v11, v166 row_newbcast:10 row_mask:0xf bank_mask:0xf// 000000006934: 0B4D4CFA FF015A0B
	v_mul_f32_dpp v167, v11, v167 row_newbcast:11 row_mask:0xf bank_mask:0xf// 00000000693C: 0B4F4EFA FF015B0B
	v_mul_f32_e32 v164, v18, v164                              // 000000006944: 0B494912
	v_mul_f32_e32 v165, v18, v165                              // 000000006948: 0B4B4B12
	v_mul_f32_e32 v166, v18, v166                              // 00000000694C: 0B4D4D12
	v_mul_f32_e32 v167, v18, v167                              // 000000006950: 0B4F4F12
	v_cvt_f32_i32_e32 v168, v168                               // 000000006954: 7F500BA8
	v_cvt_f32_i32_e32 v169, v169                               // 000000006958: 7F520BA9
	v_cvt_f32_i32_e32 v170, v170                               // 00000000695C: 7F540BAA
	v_cvt_f32_i32_e32 v171, v171                               // 000000006960: 7F560BAB
	v_mul_f32_e32 v168, v22, v168                              // 000000006964: 0B515116
	v_mul_f32_e32 v169, v22, v169                              // 000000006968: 0B535316
	v_mul_f32_e32 v170, v22, v170                              // 00000000696C: 0B555516
	v_mul_f32_e32 v171, v22, v171                              // 000000006970: 0B575716
	v_mul_f32_dpp v168, v11, v168 row_newbcast:12 row_mask:0xf bank_mask:0xf// 000000006974: 0B5150FA FF015C0B
	v_mul_f32_dpp v169, v11, v169 row_newbcast:13 row_mask:0xf bank_mask:0xf// 00000000697C: 0B5352FA FF015D0B
	v_mul_f32_dpp v170, v11, v170 row_newbcast:14 row_mask:0xf bank_mask:0xf// 000000006984: 0B5554FA FF015E0B
	v_mul_f32_dpp v171, v11, v171 row_newbcast:15 row_mask:0xf bank_mask:0xf// 00000000698C: 0B5756FA FF015F0B
	v_mul_f32_e32 v168, v17, v168                              // 000000006994: 0B515111
	v_mul_f32_e32 v169, v17, v169                              // 000000006998: 0B535311
	v_mul_f32_e32 v170, v17, v170                              // 00000000699C: 0B555511
	v_mul_f32_e32 v171, v17, v171                              // 0000000069A0: 0B575711
	v_cvt_f32_i32_e32 v172, v172                               // 0000000069A4: 7F580BAC
	v_cvt_f32_i32_e32 v173, v173                               // 0000000069A8: 7F5A0BAD
	v_cvt_f32_i32_e32 v174, v174                               // 0000000069AC: 7F5C0BAE
	v_cvt_f32_i32_e32 v175, v175                               // 0000000069B0: 7F5E0BAF
	v_mul_f32_e32 v172, v23, v172                              // 0000000069B4: 0B595917
	v_mul_f32_e32 v173, v23, v173                              // 0000000069B8: 0B5B5B17
	v_mul_f32_e32 v174, v23, v174                              // 0000000069BC: 0B5D5D17
	v_mul_f32_e32 v175, v23, v175                              // 0000000069C0: 0B5F5F17
	v_mul_f32_dpp v172, v11, v172 row_newbcast:12 row_mask:0xf bank_mask:0xf// 0000000069C4: 0B5958FA FF015C0B
	v_mul_f32_dpp v173, v11, v173 row_newbcast:13 row_mask:0xf bank_mask:0xf// 0000000069CC: 0B5B5AFA FF015D0B
	v_mul_f32_dpp v174, v11, v174 row_newbcast:14 row_mask:0xf bank_mask:0xf// 0000000069D4: 0B5D5CFA FF015E0B
	v_mul_f32_dpp v175, v11, v175 row_newbcast:15 row_mask:0xf bank_mask:0xf// 0000000069DC: 0B5F5EFA FF015F0B
	v_mul_f32_e32 v172, v18, v172                              // 0000000069E4: 0B595912
	v_mul_f32_e32 v173, v18, v173                              // 0000000069E8: 0B5B5B12
	v_mul_f32_e32 v174, v18, v174                              // 0000000069EC: 0B5D5D12
	v_mul_f32_e32 v175, v18, v175                              // 0000000069F0: 0B5F5F12
	v_cvt_pkrtz_f16_f32 v144, v144, v145                       // 0000000069F4: D2960090 00032390
	v_cvt_pkrtz_f16_f32 v145, v146, v147                       // 0000000069FC: D2960091 00032792
	v_cvt_pkrtz_f16_f32 v146, v148, v149                       // 000000006A04: D2960092 00032B94
	v_cvt_pkrtz_f16_f32 v147, v150, v151                       // 000000006A0C: D2960093 00032F96
	v_cvt_pkrtz_f16_f32 v148, v152, v153                       // 000000006A14: D2960094 00033398
	v_cvt_pkrtz_f16_f32 v149, v154, v155                       // 000000006A1C: D2960095 0003379A
	v_cvt_pkrtz_f16_f32 v150, v156, v157                       // 000000006A24: D2960096 00033B9C
	v_cvt_pkrtz_f16_f32 v151, v158, v159                       // 000000006A2C: D2960097 00033F9E
	v_cvt_pkrtz_f16_f32 v152, v160, v161                       // 000000006A34: D2960098 000343A0
	v_cvt_pkrtz_f16_f32 v153, v162, v163                       // 000000006A3C: D2960099 000347A2
	v_cvt_pkrtz_f16_f32 v154, v164, v165                       // 000000006A44: D296009A 00034BA4
	v_cvt_pkrtz_f16_f32 v155, v166, v167                       // 000000006A4C: D296009B 00034FA6
	v_cvt_pkrtz_f16_f32 v156, v168, v169                       // 000000006A54: D296009C 000353A8
	v_cvt_pkrtz_f16_f32 v157, v170, v171                       // 000000006A5C: D296009D 000357AA
	v_cvt_pkrtz_f16_f32 v158, v172, v173                       // 000000006A64: D296009E 00035BAC
	v_cvt_pkrtz_f16_f32 v159, v174, v175                       // 000000006A6C: D296009F 00035FAE
	ds_write_b64 v3, v[144:145] offset:22784                   // 000000006A74: D89A5900 00009003
	ds_write_b64 v3, v[146:147] offset:31488                   // 000000006A7C: D89A7B00 00009203
	ds_write_b64 v3, v[148:149] offset:24960                   // 000000006A84: D89A6180 00009403
	ds_write_b64 v3, v[150:151] offset:33664                   // 000000006A8C: D89A8380 00009603
	ds_write_b64 v3, v[152:153] offset:27136                   // 000000006A94: D89A6A00 00009803
	ds_write_b64 v3, v[154:155] offset:35840                   // 000000006A9C: D89A8C00 00009A03
	ds_write_b64 v3, v[156:157] offset:29312                   // 000000006AA4: D89A7280 00009C03
	ds_write_b64 v3, v[158:159] offset:38016                   // 000000006AAC: D89A9480 00009E03
	s_waitcnt lgkmcnt(0)                                       // 000000006AB4: BF8CC07F
	s_barrier                                                  // 000000006AB8: BF8A0000
	ds_read_b32 v64, v4 offset:22784                           // 000000006ABC: D86C5900 40000004
	ds_read_b32 v65, v4 offset:27136                           // 000000006AC4: D86C6A00 41000004
	ds_read_b32 v66, v4 offset:22816                           // 000000006ACC: D86C5920 42000004
	ds_read_b32 v67, v4 offset:27168                           // 000000006AD4: D86C6A20 43000004
	ds_read_b32 v68, v4 offset:22848                           // 000000006ADC: D86C5940 44000004
	ds_read_b32 v69, v4 offset:27200                           // 000000006AE4: D86C6A40 45000004
	ds_read_b32 v70, v4 offset:22880                           // 000000006AEC: D86C5960 46000004
	ds_read_b32 v71, v4 offset:27232                           // 000000006AF4: D86C6A60 47000004
	ds_read_b32 v72, v4 offset:31488                           // 000000006AFC: D86C7B00 48000004
	ds_read_b32 v73, v4 offset:35840                           // 000000006B04: D86C8C00 49000004
	ds_read_b32 v74, v4 offset:31520                           // 000000006B0C: D86C7B20 4A000004
	ds_read_b32 v75, v4 offset:35872                           // 000000006B14: D86C8C20 4B000004
	ds_read_b32 v76, v4 offset:31552                           // 000000006B1C: D86C7B40 4C000004
	ds_read_b32 v77, v4 offset:35904                           // 000000006B24: D86C8C40 4D000004
	ds_read_b32 v78, v4 offset:31584                           // 000000006B2C: D86C7B60 4E000004
	ds_read_b32 v79, v4 offset:35936                           // 000000006B34: D86C8C60 4F000004
	s_waitcnt lgkmcnt(0)                                       // 000000006B3C: BF8CC07F
	s_mov_b64 exec, s[20:21]                                   // 000000006B40: BEFE0114
	global_atomic_pk_add_f16 v80, v64, s[8:9]                  // 000000006B44: DD388000 00084050
	s_mov_b64 exec, s[36:37]                                   // 000000006B4C: BEFE0124
	s_mov_b64 exec, s[20:21]                                   // 000000006B50: BEFE0114
	global_atomic_pk_add_f16 v80, v65, s[8:9] offset:256       // 000000006B54: DD388100 00084150
	s_mov_b64 exec, s[36:37]                                   // 000000006B5C: BEFE0124
	s_mov_b64 exec, s[22:23]                                   // 000000006B60: BEFE0116
	global_atomic_pk_add_f16 v82, v66, s[8:9]                  // 000000006B64: DD388000 00084252
	s_mov_b64 exec, s[36:37]                                   // 000000006B6C: BEFE0124
	s_mov_b64 exec, s[22:23]                                   // 000000006B70: BEFE0116
	global_atomic_pk_add_f16 v82, v67, s[8:9] offset:256       // 000000006B74: DD388100 00084352
	s_mov_b64 exec, s[36:37]                                   // 000000006B7C: BEFE0124
	s_mov_b64 exec, s[24:25]                                   // 000000006B80: BEFE0118
	global_atomic_pk_add_f16 v84, v68, s[8:9]                  // 000000006B84: DD388000 00084454
	s_mov_b64 exec, s[36:37]                                   // 000000006B8C: BEFE0124
	s_mov_b64 exec, s[24:25]                                   // 000000006B90: BEFE0118
	global_atomic_pk_add_f16 v84, v69, s[8:9] offset:256       // 000000006B94: DD388100 00084554
	s_mov_b64 exec, s[36:37]                                   // 000000006B9C: BEFE0124
	s_mov_b64 exec, s[26:27]                                   // 000000006BA0: BEFE011A
	global_atomic_pk_add_f16 v86, v70, s[8:9]                  // 000000006BA4: DD388000 00084656
	s_mov_b64 exec, s[36:37]                                   // 000000006BAC: BEFE0124
	s_mov_b64 exec, s[26:27]                                   // 000000006BB0: BEFE011A
	global_atomic_pk_add_f16 v86, v71, s[8:9] offset:256       // 000000006BB4: DD388100 00084756
	s_mov_b64 exec, s[36:37]                                   // 000000006BBC: BEFE0124
	s_mov_b64 exec, s[28:29]                                   // 000000006BC0: BEFE011C
	global_atomic_pk_add_f16 v88, v72, s[8:9]                  // 000000006BC4: DD388000 00084858
	s_mov_b64 exec, s[36:37]                                   // 000000006BCC: BEFE0124
	s_mov_b64 exec, s[28:29]                                   // 000000006BD0: BEFE011C
	global_atomic_pk_add_f16 v88, v73, s[8:9] offset:256       // 000000006BD4: DD388100 00084958
	s_mov_b64 exec, s[36:37]                                   // 000000006BDC: BEFE0124
	s_mov_b64 exec, s[30:31]                                   // 000000006BE0: BEFE011E
	global_atomic_pk_add_f16 v90, v74, s[8:9]                  // 000000006BE4: DD388000 00084A5A
	s_mov_b64 exec, s[36:37]                                   // 000000006BEC: BEFE0124
	s_mov_b64 exec, s[30:31]                                   // 000000006BF0: BEFE011E
	global_atomic_pk_add_f16 v90, v75, s[8:9] offset:256       // 000000006BF4: DD388100 00084B5A
	s_mov_b64 exec, s[36:37]                                   // 000000006BFC: BEFE0124
	s_mov_b64 exec, s[32:33]                                   // 000000006C00: BEFE0120
	global_atomic_pk_add_f16 v92, v76, s[8:9]                  // 000000006C04: DD388000 00084C5C
	s_mov_b64 exec, s[36:37]                                   // 000000006C0C: BEFE0124
	s_mov_b64 exec, s[32:33]                                   // 000000006C10: BEFE0120
	global_atomic_pk_add_f16 v92, v77, s[8:9] offset:256       // 000000006C14: DD388100 00084D5C
	s_mov_b64 exec, s[36:37]                                   // 000000006C1C: BEFE0124
	s_mov_b64 exec, s[34:35]                                   // 000000006C20: BEFE0122
	global_atomic_pk_add_f16 v94, v78, s[8:9]                  // 000000006C24: DD388000 00084E5E
	s_mov_b64 exec, s[36:37]                                   // 000000006C2C: BEFE0124
	s_mov_b64 exec, s[34:35]                                   // 000000006C30: BEFE0122
	global_atomic_pk_add_f16 v94, v79, s[8:9] offset:256       // 000000006C34: DD388100 00084F5E
	s_mov_b64 exec, s[36:37]                                   // 000000006C3C: BEFE0124
	s_add_u32 s8, s59, s8                                      // 000000006C40: 8008083B
	s_addc_u32 s9, 0, s9                                       // 000000006C44: 82090980
	s_addk_i32 s80, 0x100                                      // 000000006C48: B7500100
	s_cmp_lt_i32 s80, s81                                      // 000000006C4C: BF045150
	s_cbranch_scc0 label_09B4                                  // 000000006C50: BF84FA1F
	s_waitcnt vmcnt(21)                                        // 000000006C54: BF8C4F75
	s_barrier                                                  // 000000006C58: BF8A0000
	v_mfma_i32_16x16x32_i8 v[176:179], a[32:33], v[128:129], 0 // 000000006C5C: D3D700B0 0A030120
	buffer_load_dwordx4 a[0:3], v34, s[12:15], 0 offen         // 000000006C64: E05C1000 80830022
	v_mfma_i32_16x16x32_i8 v[176:179], a[34:35], v[130:131], v[176:179]// 000000006C6C: D3D700B0 0EC30522
	v_mfma_i32_16x16x32_i8 v[180:183], a[32:33], v[136:137], 0 // 000000006C74: D3D700B4 0A031120
	v_mfma_i32_16x16x32_i8 v[180:183], a[34:35], v[138:139], v[180:183]// 000000006C7C: D3D700B4 0ED31522
	v_mfma_i32_16x16x32_i8 v[184:187], a[36:37], v[128:129], 0 // 000000006C84: D3D700B8 0A030124
	buffer_load_dwordx4 a[4:7], v35, s[12:15], 0 offen         // 000000006C8C: E05C1000 80830423
	v_mfma_i32_16x16x32_i8 v[184:187], a[38:39], v[130:131], v[184:187]// 000000006C94: D3D700B8 0EE30526
	v_mfma_i32_16x16x32_i8 v[188:191], a[36:37], v[136:137], 0 // 000000006C9C: D3D700BC 0A031124
	v_mfma_i32_16x16x32_i8 v[188:191], a[38:39], v[138:139], v[188:191]// 000000006CA4: D3D700BC 0EF31526
	v_mfma_i32_16x16x32_i8 v[192:195], a[40:41], v[128:129], 0 // 000000006CAC: D3D700C0 0A030128
	buffer_load_dwordx4 a[8:11], v36, s[12:15], 0 offen        // 000000006CB4: E05C1000 80830824
	v_mfma_i32_16x16x32_i8 v[192:195], a[42:43], v[130:131], v[192:195]// 000000006CBC: D3D700C0 0F03052A
	v_mfma_i32_16x16x32_i8 v[196:199], a[40:41], v[136:137], 0 // 000000006CC4: D3D700C4 0A031128
	v_mfma_i32_16x16x32_i8 v[196:199], a[42:43], v[138:139], v[196:199]// 000000006CCC: D3D700C4 0F13152A
	v_mfma_i32_16x16x32_i8 v[200:203], a[44:45], v[128:129], 0 // 000000006CD4: D3D700C8 0A03012C
	buffer_load_dwordx4 a[12:15], v37, s[12:15], 0 offen       // 000000006CDC: E05C1000 80830C25
	s_add_u32 s12, s78, s12                                    // 000000006CE4: 800C0C4E
	s_addc_u32 s13, 0, s13                                     // 000000006CE8: 820D0D80
	v_mfma_i32_16x16x32_i8 v[200:203], a[46:47], v[130:131], v[200:203]// 000000006CEC: D3D700C8 0F23052E
	v_mfma_i32_16x16x32_i8 v[204:207], a[44:45], v[136:137], 0 // 000000006CF4: D3D700CC 0A03112C
	v_mfma_i32_16x16x32_i8 v[204:207], a[46:47], v[138:139], v[204:207]// 000000006CFC: D3D700CC 0F33152E
	s_waitcnt vmcnt(20)                                        // 000000006D04: BF8C4F74
	v_mfma_i32_16x16x32_i8 v[176:179], a[48:49], v[132:133], v[176:179]// 000000006D08: D3D700B0 0EC30930
	buffer_load_dwordx4 a[16:19], v34, s[12:15], 0 offen       // 000000006D10: E05C1000 80831022
	v_mfma_i32_16x16x32_i8 v[176:179], a[50:51], v[134:135], v[176:179]// 000000006D18: D3D700B0 0EC30D32
	v_mfma_i32_16x16x32_i8 v[180:183], a[48:49], v[140:141], v[180:183]// 000000006D20: D3D700B4 0ED31930
	buffer_load_dword v11, v5, s[16:19], 0 offen               // 000000006D28: E0501000 80040B05
	v_mfma_i32_16x16x32_i8 v[180:183], a[50:51], v[142:143], v[180:183]// 000000006D30: D3D700B4 0ED31D32
	v_mfma_i32_16x16x32_i8 v[184:187], a[52:53], v[132:133], v[184:187]// 000000006D38: D3D700B8 0EE30934
	buffer_load_dwordx4 a[20:23], v35, s[12:15], 0 offen       // 000000006D40: E05C1000 80831423
	v_mfma_i32_16x16x32_i8 v[184:187], a[54:55], v[134:135], v[184:187]// 000000006D48: D3D700B8 0EE30D36
	v_mfma_i32_16x16x32_i8 v[188:191], a[52:53], v[140:141], v[188:191]// 000000006D50: D3D700BC 0EF31934
	v_mfma_i32_16x16x32_i8 v[188:191], a[54:55], v[142:143], v[188:191]// 000000006D58: D3D700BC 0EF31D36
	v_mfma_i32_16x16x32_i8 v[192:195], a[56:57], v[132:133], v[192:195]// 000000006D60: D3D700C0 0F030938
	buffer_load_dwordx4 a[24:27], v36, s[12:15], 0 offen       // 000000006D68: E05C1000 80831824
	v_mfma_i32_16x16x32_i8 v[192:195], a[58:59], v[134:135], v[192:195]// 000000006D70: D3D700C0 0F030D3A
	v_mfma_i32_16x16x32_i8 v[196:199], a[56:57], v[140:141], v[196:199]// 000000006D78: D3D700C4 0F131938
	v_mfma_i32_16x16x32_i8 v[196:199], a[58:59], v[142:143], v[196:199]// 000000006D80: D3D700C4 0F131D3A
	v_mfma_i32_16x16x32_i8 v[200:203], a[60:61], v[132:133], v[200:203]// 000000006D88: D3D700C8 0F23093C
	buffer_load_dwordx4 a[28:31], v37, s[12:15], 0 offen       // 000000006D90: E05C1000 80831C25
	v_mfma_i32_16x16x32_i8 v[200:203], a[62:63], v[134:135], v[200:203]// 000000006D98: D3D700C8 0F230D3E
	v_mfma_i32_16x16x32_i8 v[204:207], a[60:61], v[140:141], v[204:207]// 000000006DA0: D3D700CC 0F33193C
	v_mfma_i32_16x16x32_i8 v[204:207], a[62:63], v[142:143], v[204:207]// 000000006DA8: D3D700CC 0F331D3E
	s_add_u32 s60, 0x200, s80                                  // 000000006DB0: 803C50FF 00000200
	s_cmp_lt_u32 s60, s81                                      // 000000006DB8: BF0A513C
	s_cselect_b32 s56, s56, 0                                  // 000000006DBC: 85388038
	s_cselect_b32 s78, s78, 0                                  // 000000006DC0: 854E804E
	s_cselect_b32 s79, s79, 0                                  // 000000006DC4: 854F804F
	s_add_u32 s12, s56, s12                                    // 000000006DC8: 800C0C38
	s_addc_u32 s13, 0, s13                                     // 000000006DCC: 820D0D80
	s_add_u32 s16, s79, s16                                    // 000000006DD0: 8010104F
	s_addc_u32 s17, 0, s17                                     // 000000006DD4: 82111180
	v_cvt_f32_i32_e32 v176, v176                               // 000000006DD8: 7F600BB0
	v_cvt_f32_i32_e32 v177, v177                               // 000000006DDC: 7F620BB1
	v_cvt_f32_i32_e32 v178, v178                               // 000000006DE0: 7F640BB2
	v_cvt_f32_i32_e32 v179, v179                               // 000000006DE4: 7F660BB3
	v_mul_f32_e32 v176, v22, v176                              // 000000006DE8: 0B616116
	v_mul_f32_e32 v177, v22, v177                              // 000000006DEC: 0B636316
	v_mul_f32_e32 v178, v22, v178                              // 000000006DF0: 0B656516
	v_mul_f32_e32 v179, v22, v179                              // 000000006DF4: 0B676716
	v_mul_f32_dpp v176, v12, v176 row_newbcast:0 row_mask:0xf bank_mask:0xf// 000000006DF8: 0B6160FA FF01500C
	v_mul_f32_dpp v177, v12, v177 row_newbcast:1 row_mask:0xf bank_mask:0xf// 000000006E00: 0B6362FA FF01510C
	v_mul_f32_dpp v178, v12, v178 row_newbcast:2 row_mask:0xf bank_mask:0xf// 000000006E08: 0B6564FA FF01520C
	v_mul_f32_dpp v179, v12, v179 row_newbcast:3 row_mask:0xf bank_mask:0xf// 000000006E10: 0B6766FA FF01530C
	v_mul_f32_e32 v176, v17, v176                              // 000000006E18: 0B616111
	v_mul_f32_e32 v177, v17, v177                              // 000000006E1C: 0B636311
	v_mul_f32_e32 v178, v17, v178                              // 000000006E20: 0B656511
	v_mul_f32_e32 v179, v17, v179                              // 000000006E24: 0B676711
	v_cvt_f32_i32_e32 v180, v180                               // 000000006E28: 7F680BB4
	v_cvt_f32_i32_e32 v181, v181                               // 000000006E2C: 7F6A0BB5
	v_cvt_f32_i32_e32 v182, v182                               // 000000006E30: 7F6C0BB6
	v_cvt_f32_i32_e32 v183, v183                               // 000000006E34: 7F6E0BB7
	v_mul_f32_e32 v180, v23, v180                              // 000000006E38: 0B696917
	v_mul_f32_e32 v181, v23, v181                              // 000000006E3C: 0B6B6B17
	v_mul_f32_e32 v182, v23, v182                              // 000000006E40: 0B6D6D17
	v_mul_f32_e32 v183, v23, v183                              // 000000006E44: 0B6F6F17
	v_mul_f32_dpp v180, v12, v180 row_newbcast:0 row_mask:0xf bank_mask:0xf// 000000006E48: 0B6968FA FF01500C
	v_mul_f32_dpp v181, v12, v181 row_newbcast:1 row_mask:0xf bank_mask:0xf// 000000006E50: 0B6B6AFA FF01510C
	v_mul_f32_dpp v182, v12, v182 row_newbcast:2 row_mask:0xf bank_mask:0xf// 000000006E58: 0B6D6CFA FF01520C
	v_mul_f32_dpp v183, v12, v183 row_newbcast:3 row_mask:0xf bank_mask:0xf// 000000006E60: 0B6F6EFA FF01530C
	v_mul_f32_e32 v180, v18, v180                              // 000000006E68: 0B696912
	v_mul_f32_e32 v181, v18, v181                              // 000000006E6C: 0B6B6B12
	v_mul_f32_e32 v182, v18, v182                              // 000000006E70: 0B6D6D12
	v_mul_f32_e32 v183, v18, v183                              // 000000006E74: 0B6F6F12
	v_cvt_f32_i32_e32 v184, v184                               // 000000006E78: 7F700BB8
	v_cvt_f32_i32_e32 v185, v185                               // 000000006E7C: 7F720BB9
	v_cvt_f32_i32_e32 v186, v186                               // 000000006E80: 7F740BBA
	v_cvt_f32_i32_e32 v187, v187                               // 000000006E84: 7F760BBB
	v_mul_f32_e32 v184, v22, v184                              // 000000006E88: 0B717116
	v_mul_f32_e32 v185, v22, v185                              // 000000006E8C: 0B737316
	v_mul_f32_e32 v186, v22, v186                              // 000000006E90: 0B757516
	v_mul_f32_e32 v187, v22, v187                              // 000000006E94: 0B777716
	v_mul_f32_dpp v184, v12, v184 row_newbcast:4 row_mask:0xf bank_mask:0xf// 000000006E98: 0B7170FA FF01540C
	v_mul_f32_dpp v185, v12, v185 row_newbcast:5 row_mask:0xf bank_mask:0xf// 000000006EA0: 0B7372FA FF01550C
	v_mul_f32_dpp v186, v12, v186 row_newbcast:6 row_mask:0xf bank_mask:0xf// 000000006EA8: 0B7574FA FF01560C
	v_mul_f32_dpp v187, v12, v187 row_newbcast:7 row_mask:0xf bank_mask:0xf// 000000006EB0: 0B7776FA FF01570C
	v_mul_f32_e32 v184, v17, v184                              // 000000006EB8: 0B717111
	v_mul_f32_e32 v185, v17, v185                              // 000000006EBC: 0B737311
	v_mul_f32_e32 v186, v17, v186                              // 000000006EC0: 0B757511
	v_mul_f32_e32 v187, v17, v187                              // 000000006EC4: 0B777711
	v_cvt_f32_i32_e32 v188, v188                               // 000000006EC8: 7F780BBC
	v_cvt_f32_i32_e32 v189, v189                               // 000000006ECC: 7F7A0BBD
	v_cvt_f32_i32_e32 v190, v190                               // 000000006ED0: 7F7C0BBE
	v_cvt_f32_i32_e32 v191, v191                               // 000000006ED4: 7F7E0BBF
	v_mul_f32_e32 v188, v23, v188                              // 000000006ED8: 0B797917
	v_mul_f32_e32 v189, v23, v189                              // 000000006EDC: 0B7B7B17
	v_mul_f32_e32 v190, v23, v190                              // 000000006EE0: 0B7D7D17
	v_mul_f32_e32 v191, v23, v191                              // 000000006EE4: 0B7F7F17
	v_mul_f32_dpp v188, v12, v188 row_newbcast:4 row_mask:0xf bank_mask:0xf// 000000006EE8: 0B7978FA FF01540C
	v_mul_f32_dpp v189, v12, v189 row_newbcast:5 row_mask:0xf bank_mask:0xf// 000000006EF0: 0B7B7AFA FF01550C
	v_mul_f32_dpp v190, v12, v190 row_newbcast:6 row_mask:0xf bank_mask:0xf// 000000006EF8: 0B7D7CFA FF01560C
	v_mul_f32_dpp v191, v12, v191 row_newbcast:7 row_mask:0xf bank_mask:0xf// 000000006F00: 0B7F7EFA FF01570C
	v_mul_f32_e32 v188, v18, v188                              // 000000006F08: 0B797912
	v_mul_f32_e32 v189, v18, v189                              // 000000006F0C: 0B7B7B12
	v_mul_f32_e32 v190, v18, v190                              // 000000006F10: 0B7D7D12
	v_mul_f32_e32 v191, v18, v191                              // 000000006F14: 0B7F7F12
	v_cvt_f32_i32_e32 v192, v192                               // 000000006F18: 7F800BC0
	v_cvt_f32_i32_e32 v193, v193                               // 000000006F1C: 7F820BC1
	v_cvt_f32_i32_e32 v194, v194                               // 000000006F20: 7F840BC2
	v_cvt_f32_i32_e32 v195, v195                               // 000000006F24: 7F860BC3
	v_mul_f32_e32 v192, v22, v192                              // 000000006F28: 0B818116
	v_mul_f32_e32 v193, v22, v193                              // 000000006F2C: 0B838316
	v_mul_f32_e32 v194, v22, v194                              // 000000006F30: 0B858516
	v_mul_f32_e32 v195, v22, v195                              // 000000006F34: 0B878716
	v_mul_f32_dpp v192, v12, v192 row_newbcast:8 row_mask:0xf bank_mask:0xf// 000000006F38: 0B8180FA FF01580C
	v_mul_f32_dpp v193, v12, v193 row_newbcast:9 row_mask:0xf bank_mask:0xf// 000000006F40: 0B8382FA FF01590C
	v_mul_f32_dpp v194, v12, v194 row_newbcast:10 row_mask:0xf bank_mask:0xf// 000000006F48: 0B8584FA FF015A0C
	v_mul_f32_dpp v195, v12, v195 row_newbcast:11 row_mask:0xf bank_mask:0xf// 000000006F50: 0B8786FA FF015B0C
	v_mul_f32_e32 v192, v17, v192                              // 000000006F58: 0B818111
	v_mul_f32_e32 v193, v17, v193                              // 000000006F5C: 0B838311
	v_mul_f32_e32 v194, v17, v194                              // 000000006F60: 0B858511
	v_mul_f32_e32 v195, v17, v195                              // 000000006F64: 0B878711
	v_cvt_f32_i32_e32 v196, v196                               // 000000006F68: 7F880BC4
	v_cvt_f32_i32_e32 v197, v197                               // 000000006F6C: 7F8A0BC5
	v_cvt_f32_i32_e32 v198, v198                               // 000000006F70: 7F8C0BC6
	v_cvt_f32_i32_e32 v199, v199                               // 000000006F74: 7F8E0BC7
	v_mul_f32_e32 v196, v23, v196                              // 000000006F78: 0B898917
	v_mul_f32_e32 v197, v23, v197                              // 000000006F7C: 0B8B8B17
	v_mul_f32_e32 v198, v23, v198                              // 000000006F80: 0B8D8D17
	v_mul_f32_e32 v199, v23, v199                              // 000000006F84: 0B8F8F17
	v_mul_f32_dpp v196, v12, v196 row_newbcast:8 row_mask:0xf bank_mask:0xf// 000000006F88: 0B8988FA FF01580C
	v_mul_f32_dpp v197, v12, v197 row_newbcast:9 row_mask:0xf bank_mask:0xf// 000000006F90: 0B8B8AFA FF01590C
	v_mul_f32_dpp v198, v12, v198 row_newbcast:10 row_mask:0xf bank_mask:0xf// 000000006F98: 0B8D8CFA FF015A0C
	v_mul_f32_dpp v199, v12, v199 row_newbcast:11 row_mask:0xf bank_mask:0xf// 000000006FA0: 0B8F8EFA FF015B0C
	v_mul_f32_e32 v196, v18, v196                              // 000000006FA8: 0B898912
	v_mul_f32_e32 v197, v18, v197                              // 000000006FAC: 0B8B8B12
	v_mul_f32_e32 v198, v18, v198                              // 000000006FB0: 0B8D8D12
	v_mul_f32_e32 v199, v18, v199                              // 000000006FB4: 0B8F8F12
	v_cvt_f32_i32_e32 v200, v200                               // 000000006FB8: 7F900BC8
	v_cvt_f32_i32_e32 v201, v201                               // 000000006FBC: 7F920BC9
	v_cvt_f32_i32_e32 v202, v202                               // 000000006FC0: 7F940BCA
	v_cvt_f32_i32_e32 v203, v203                               // 000000006FC4: 7F960BCB
	v_mul_f32_e32 v200, v22, v200                              // 000000006FC8: 0B919116
	v_mul_f32_e32 v201, v22, v201                              // 000000006FCC: 0B939316
	v_mul_f32_e32 v202, v22, v202                              // 000000006FD0: 0B959516
	v_mul_f32_e32 v203, v22, v203                              // 000000006FD4: 0B979716
	v_mul_f32_dpp v200, v12, v200 row_newbcast:12 row_mask:0xf bank_mask:0xf// 000000006FD8: 0B9190FA FF015C0C
	v_mul_f32_dpp v201, v12, v201 row_newbcast:13 row_mask:0xf bank_mask:0xf// 000000006FE0: 0B9392FA FF015D0C
	v_mul_f32_dpp v202, v12, v202 row_newbcast:14 row_mask:0xf bank_mask:0xf// 000000006FE8: 0B9594FA FF015E0C
	v_mul_f32_dpp v203, v12, v203 row_newbcast:15 row_mask:0xf bank_mask:0xf// 000000006FF0: 0B9796FA FF015F0C
	v_mul_f32_e32 v200, v17, v200                              // 000000006FF8: 0B919111
	v_mul_f32_e32 v201, v17, v201                              // 000000006FFC: 0B939311
	v_mul_f32_e32 v202, v17, v202                              // 000000007000: 0B959511
	v_mul_f32_e32 v203, v17, v203                              // 000000007004: 0B979711
	v_cvt_f32_i32_e32 v204, v204                               // 000000007008: 7F980BCC
	v_cvt_f32_i32_e32 v205, v205                               // 00000000700C: 7F9A0BCD
	v_cvt_f32_i32_e32 v206, v206                               // 000000007010: 7F9C0BCE
	v_cvt_f32_i32_e32 v207, v207                               // 000000007014: 7F9E0BCF
	v_mul_f32_e32 v204, v23, v204                              // 000000007018: 0B999917
	v_mul_f32_e32 v205, v23, v205                              // 00000000701C: 0B9B9B17
	v_mul_f32_e32 v206, v23, v206                              // 000000007020: 0B9D9D17
	v_mul_f32_e32 v207, v23, v207                              // 000000007024: 0B9F9F17
	v_mul_f32_dpp v204, v12, v204 row_newbcast:12 row_mask:0xf bank_mask:0xf// 000000007028: 0B9998FA FF015C0C
	v_mul_f32_dpp v205, v12, v205 row_newbcast:13 row_mask:0xf bank_mask:0xf// 000000007030: 0B9B9AFA FF015D0C
	v_mul_f32_dpp v206, v12, v206 row_newbcast:14 row_mask:0xf bank_mask:0xf// 000000007038: 0B9D9CFA FF015E0C
	v_mul_f32_dpp v207, v12, v207 row_newbcast:15 row_mask:0xf bank_mask:0xf// 000000007040: 0B9F9EFA FF015F0C
	v_mul_f32_e32 v204, v18, v204                              // 000000007048: 0B999912
	v_mul_f32_e32 v205, v18, v205                              // 00000000704C: 0B9B9B12
	v_mul_f32_e32 v206, v18, v206                              // 000000007050: 0B9D9D12
	v_mul_f32_e32 v207, v18, v207                              // 000000007054: 0B9F9F12
	v_cvt_pkrtz_f16_f32 v176, v176, v177                       // 000000007058: D29600B0 000363B0
	v_cvt_pkrtz_f16_f32 v177, v178, v179                       // 000000007060: D29600B1 000367B2
	v_cvt_pkrtz_f16_f32 v178, v180, v181                       // 000000007068: D29600B2 00036BB4
	v_cvt_pkrtz_f16_f32 v179, v182, v183                       // 000000007070: D29600B3 00036FB6
	v_cvt_pkrtz_f16_f32 v180, v184, v185                       // 000000007078: D29600B4 000373B8
	v_cvt_pkrtz_f16_f32 v181, v186, v187                       // 000000007080: D29600B5 000377BA
	v_cvt_pkrtz_f16_f32 v182, v188, v189                       // 000000007088: D29600B6 00037BBC
	v_cvt_pkrtz_f16_f32 v183, v190, v191                       // 000000007090: D29600B7 00037FBE
	v_cvt_pkrtz_f16_f32 v184, v192, v193                       // 000000007098: D29600B8 000383C0
	v_cvt_pkrtz_f16_f32 v185, v194, v195                       // 0000000070A0: D29600B9 000387C2
	v_cvt_pkrtz_f16_f32 v186, v196, v197                       // 0000000070A8: D29600BA 00038BC4
	v_cvt_pkrtz_f16_f32 v187, v198, v199                       // 0000000070B0: D29600BB 00038FC6
	v_cvt_pkrtz_f16_f32 v188, v200, v201                       // 0000000070B8: D29600BC 000393C8
	v_cvt_pkrtz_f16_f32 v189, v202, v203                       // 0000000070C0: D29600BD 000397CA
	v_cvt_pkrtz_f16_f32 v190, v204, v205                       // 0000000070C8: D29600BE 00039BCC
	v_cvt_pkrtz_f16_f32 v191, v206, v207                       // 0000000070D0: D29600BF 00039FCE
	ds_write_b64 v3, v[176:177] offset:22784                   // 0000000070D8: D89A5900 0000B003
	ds_write_b64 v3, v[178:179] offset:31488                   // 0000000070E0: D89A7B00 0000B203
	ds_write_b64 v3, v[180:181] offset:24960                   // 0000000070E8: D89A6180 0000B403
	ds_write_b64 v3, v[182:183] offset:33664                   // 0000000070F0: D89A8380 0000B603
	ds_write_b64 v3, v[184:185] offset:27136                   // 0000000070F8: D89A6A00 0000B803
	ds_write_b64 v3, v[186:187] offset:35840                   // 000000007100: D89A8C00 0000BA03
	ds_write_b64 v3, v[188:189] offset:29312                   // 000000007108: D89A7280 0000BC03
	ds_write_b64 v3, v[190:191] offset:38016                   // 000000007110: D89A9480 0000BE03
	s_waitcnt lgkmcnt(0)                                       // 000000007118: BF8CC07F
	s_barrier                                                  // 00000000711C: BF8A0000
	ds_read_b32 v64, v4 offset:22784                           // 000000007120: D86C5900 40000004
	ds_read_b32 v65, v4 offset:27136                           // 000000007128: D86C6A00 41000004
	ds_read_b32 v66, v4 offset:22816                           // 000000007130: D86C5920 42000004
	ds_read_b32 v67, v4 offset:27168                           // 000000007138: D86C6A20 43000004
	ds_read_b32 v68, v4 offset:22848                           // 000000007140: D86C5940 44000004
	ds_read_b32 v69, v4 offset:27200                           // 000000007148: D86C6A40 45000004
	ds_read_b32 v70, v4 offset:22880                           // 000000007150: D86C5960 46000004
	ds_read_b32 v71, v4 offset:27232                           // 000000007158: D86C6A60 47000004
	ds_read_b32 v72, v4 offset:31488                           // 000000007160: D86C7B00 48000004
	ds_read_b32 v73, v4 offset:35840                           // 000000007168: D86C8C00 49000004
	ds_read_b32 v74, v4 offset:31520                           // 000000007170: D86C7B20 4A000004
	ds_read_b32 v75, v4 offset:35872                           // 000000007178: D86C8C20 4B000004
	ds_read_b32 v76, v4 offset:31552                           // 000000007180: D86C7B40 4C000004
	ds_read_b32 v77, v4 offset:35904                           // 000000007188: D86C8C40 4D000004
	ds_read_b32 v78, v4 offset:31584                           // 000000007190: D86C7B60 4E000004
	ds_read_b32 v79, v4 offset:35936                           // 000000007198: D86C8C60 4F000004
	s_waitcnt lgkmcnt(0)                                       // 0000000071A0: BF8CC07F
	s_mov_b64 exec, s[20:21]                                   // 0000000071A4: BEFE0114
	global_atomic_pk_add_f16 v80, v64, s[8:9]                  // 0000000071A8: DD388000 00084050
	s_mov_b64 exec, s[36:37]                                   // 0000000071B0: BEFE0124
	s_mov_b64 exec, s[20:21]                                   // 0000000071B4: BEFE0114
	global_atomic_pk_add_f16 v80, v65, s[8:9] offset:256       // 0000000071B8: DD388100 00084150
	s_mov_b64 exec, s[36:37]                                   // 0000000071C0: BEFE0124
	s_mov_b64 exec, s[22:23]                                   // 0000000071C4: BEFE0116
	global_atomic_pk_add_f16 v82, v66, s[8:9]                  // 0000000071C8: DD388000 00084252
	s_mov_b64 exec, s[36:37]                                   // 0000000071D0: BEFE0124
	s_mov_b64 exec, s[22:23]                                   // 0000000071D4: BEFE0116
	global_atomic_pk_add_f16 v82, v67, s[8:9] offset:256       // 0000000071D8: DD388100 00084352
	s_mov_b64 exec, s[36:37]                                   // 0000000071E0: BEFE0124
	s_mov_b64 exec, s[24:25]                                   // 0000000071E4: BEFE0118
	global_atomic_pk_add_f16 v84, v68, s[8:9]                  // 0000000071E8: DD388000 00084454
	s_mov_b64 exec, s[36:37]                                   // 0000000071F0: BEFE0124
	s_mov_b64 exec, s[24:25]                                   // 0000000071F4: BEFE0118
	global_atomic_pk_add_f16 v84, v69, s[8:9] offset:256       // 0000000071F8: DD388100 00084554
	s_mov_b64 exec, s[36:37]                                   // 000000007200: BEFE0124
	s_mov_b64 exec, s[26:27]                                   // 000000007204: BEFE011A
	global_atomic_pk_add_f16 v86, v70, s[8:9]                  // 000000007208: DD388000 00084656
	s_mov_b64 exec, s[36:37]                                   // 000000007210: BEFE0124
	s_mov_b64 exec, s[26:27]                                   // 000000007214: BEFE011A
	global_atomic_pk_add_f16 v86, v71, s[8:9] offset:256       // 000000007218: DD388100 00084756
	s_mov_b64 exec, s[36:37]                                   // 000000007220: BEFE0124
	s_mov_b64 exec, s[28:29]                                   // 000000007224: BEFE011C
	global_atomic_pk_add_f16 v88, v72, s[8:9]                  // 000000007228: DD388000 00084858
	s_mov_b64 exec, s[36:37]                                   // 000000007230: BEFE0124
	s_mov_b64 exec, s[28:29]                                   // 000000007234: BEFE011C
	global_atomic_pk_add_f16 v88, v73, s[8:9] offset:256       // 000000007238: DD388100 00084958
	s_mov_b64 exec, s[36:37]                                   // 000000007240: BEFE0124
	s_mov_b64 exec, s[30:31]                                   // 000000007244: BEFE011E
	global_atomic_pk_add_f16 v90, v74, s[8:9]                  // 000000007248: DD388000 00084A5A
	s_mov_b64 exec, s[36:37]                                   // 000000007250: BEFE0124
	s_mov_b64 exec, s[30:31]                                   // 000000007254: BEFE011E
	global_atomic_pk_add_f16 v90, v75, s[8:9] offset:256       // 000000007258: DD388100 00084B5A
	s_mov_b64 exec, s[36:37]                                   // 000000007260: BEFE0124
	s_mov_b64 exec, s[32:33]                                   // 000000007264: BEFE0120
	global_atomic_pk_add_f16 v92, v76, s[8:9]                  // 000000007268: DD388000 00084C5C
	s_mov_b64 exec, s[36:37]                                   // 000000007270: BEFE0124
	s_mov_b64 exec, s[32:33]                                   // 000000007274: BEFE0120
	global_atomic_pk_add_f16 v92, v77, s[8:9] offset:256       // 000000007278: DD388100 00084D5C
	s_mov_b64 exec, s[36:37]                                   // 000000007280: BEFE0124
	s_mov_b64 exec, s[34:35]                                   // 000000007284: BEFE0122
	global_atomic_pk_add_f16 v94, v78, s[8:9]                  // 000000007288: DD388000 00084E5E
	s_mov_b64 exec, s[36:37]                                   // 000000007290: BEFE0124
	s_mov_b64 exec, s[34:35]                                   // 000000007294: BEFE0122
	global_atomic_pk_add_f16 v94, v79, s[8:9] offset:256       // 000000007298: DD388100 00084F5E
	s_mov_b64 exec, s[36:37]                                   // 0000000072A0: BEFE0124
	s_add_u32 s8, s59, s8                                      // 0000000072A4: 8008083B
	s_addc_u32 s9, 0, s9                                       // 0000000072A8: 82090980
	s_addk_i32 s80, 0x100                                      // 0000000072AC: B7500100
	s_cmp_lt_i32 s80, s81                                      // 0000000072B0: BF045150
	s_cbranch_scc0 label_09B4                                  // 0000000072B4: BF84F886
	s_branch label_0DFC                                        // 0000000072B8: BF82FCCD

00000000000072bc <label_112F>:
	s_waitcnt vmcnt(0) expcnt(0) lgkmcnt(0)                    // 0000000072BC: BF8C0000
	s_endpgm                                                   // 0000000072C0: BF810000
